;; amdgpu-corpus repo=ROCm/rocFFT kind=compiled arch=gfx1030 opt=O3
	.text
	.amdgcn_target "amdgcn-amd-amdhsa--gfx1030"
	.amdhsa_code_object_version 6
	.protected	fft_rtc_back_len208_factors_13_16_wgs_144_tpt_16_dp_op_CI_CI_sbcc_twdbase6_3step ; -- Begin function fft_rtc_back_len208_factors_13_16_wgs_144_tpt_16_dp_op_CI_CI_sbcc_twdbase6_3step
	.globl	fft_rtc_back_len208_factors_13_16_wgs_144_tpt_16_dp_op_CI_CI_sbcc_twdbase6_3step
	.p2align	8
	.type	fft_rtc_back_len208_factors_13_16_wgs_144_tpt_16_dp_op_CI_CI_sbcc_twdbase6_3step,@function
fft_rtc_back_len208_factors_13_16_wgs_144_tpt_16_dp_op_CI_CI_sbcc_twdbase6_3step: ; @fft_rtc_back_len208_factors_13_16_wgs_144_tpt_16_dp_op_CI_CI_sbcc_twdbase6_3step
; %bb.0:
	s_clause 0x3
	s_load_dwordx2 s[24:25], s[4:5], 0x0
	s_load_dwordx8 s[8:15], s[4:5], 0x8
	s_load_dwordx4 s[16:19], s[4:5], 0x60
	s_load_dwordx2 s[26:27], s[4:5], 0x28
	s_mov_b64 s[62:63], s[2:3]
	s_mov_b64 s[60:61], s[0:1]
	s_mov_b32 s1, exec_lo
	s_add_u32 s60, s60, s7
	s_addc_u32 s61, s61, 0
	v_cmpx_gt_u32_e32 0xc0, v0
	s_cbranch_execz .LBB0_3
; %bb.1:
	v_lshlrev_b32_e32 v5, 4, v0
	v_add_co_u32 v1, s0, 0xffffff70, v0
	v_add_co_ci_u32_e64 v2, null, 0, -1, s0
	s_waitcnt lgkmcnt(0)
	v_add_co_u32 v3, s0, s8, v5
	v_add_co_ci_u32_e64 v4, null, s9, 0, s0
	v_add3_u32 v5, v5, 0, 0x7500
	s_mov_b32 s2, 0
	.p2align	6
.LBB0_2:                                ; =>This Inner Loop Header: Depth=1
	global_load_dwordx4 v[6:9], v[3:4], off
	v_add_co_u32 v1, vcc_lo, 0x90, v1
	v_add_co_ci_u32_e32 v2, vcc_lo, 0, v2, vcc_lo
	v_add_co_u32 v3, vcc_lo, 0x900, v3
	v_add_co_ci_u32_e32 v4, vcc_lo, 0, v4, vcc_lo
	v_cmp_lt_u64_e64 s0, 47, v[1:2]
	s_or_b32 s2, s0, s2
	s_waitcnt vmcnt(0)
	ds_write2_b64 v5, v[6:7], v[8:9] offset1:1
	v_add_nc_u32_e32 v5, 0x900, v5
	s_andn2_b32 exec_lo, exec_lo, s2
	s_cbranch_execnz .LBB0_2
.LBB0_3:
	s_or_b32 exec_lo, exec_lo, s1
	s_waitcnt lgkmcnt(0)
	s_load_dwordx2 s[28:29], s[12:13], 0x8
	s_waitcnt lgkmcnt(0)
	s_add_u32 s0, s28, -1
	s_addc_u32 s1, s29, -1
	s_add_u32 s2, 0, 0x71c4fc00
	s_addc_u32 s3, 0, 0x7c
	s_mul_hi_u32 s5, s2, -9
	s_add_i32 s3, s3, 0x1c71c6a0
	s_sub_i32 s5, s5, s2
	s_mul_i32 s8, s3, -9
	s_mul_i32 s4, s2, -9
	s_add_i32 s5, s5, s8
	s_mul_hi_u32 s7, s2, s4
	s_mul_i32 s20, s2, s5
	s_mul_hi_u32 s8, s2, s5
	s_mul_hi_u32 s9, s3, s4
	s_mul_i32 s4, s3, s4
	s_add_u32 s7, s7, s20
	s_addc_u32 s8, 0, s8
	s_mul_hi_u32 s21, s3, s5
	s_add_u32 s4, s7, s4
	s_mul_i32 s5, s3, s5
	s_addc_u32 s4, s8, s9
	s_addc_u32 s7, s21, 0
	s_add_u32 s4, s4, s5
	v_add_co_u32 v1, s2, s2, s4
	s_addc_u32 s4, 0, s7
	s_cmp_lg_u32 s2, 0
	s_addc_u32 s2, s3, s4
	v_readfirstlane_b32 s3, v1
	s_mul_i32 s5, s0, s2
	s_mul_hi_u32 s4, s0, s2
	s_mul_hi_u32 s7, s1, s2
	s_mul_i32 s2, s1, s2
	s_mul_hi_u32 s8, s0, s3
	s_mul_hi_u32 s9, s1, s3
	s_mul_i32 s3, s1, s3
	s_add_u32 s5, s8, s5
	s_addc_u32 s4, 0, s4
	s_add_u32 s3, s5, s3
	s_addc_u32 s3, s4, s9
	s_addc_u32 s4, s7, 0
	s_add_u32 s2, s3, s2
	s_addc_u32 s3, 0, s4
	s_mul_i32 s5, s2, 9
	s_add_u32 s4, s2, 1
	v_sub_co_u32 v1, s0, s0, s5
	s_mul_hi_u32 s5, s2, 9
	s_addc_u32 s7, s3, 0
	s_mul_i32 s8, s3, 9
	v_sub_co_u32 v2, s9, v1, 9
	s_add_u32 s20, s2, 2
	s_addc_u32 s21, s3, 0
	s_add_i32 s5, s5, s8
	s_cmp_lg_u32 s0, 0
	v_readfirstlane_b32 s0, v2
	s_subb_u32 s1, s1, s5
	s_cmp_lg_u32 s9, 0
	s_mov_b64 s[8:9], 0
	s_subb_u32 s5, s1, 0
	s_cmp_gt_u32 s0, 8
	s_cselect_b32 s0, -1, 0
	s_cmp_eq_u32 s5, 0
	v_readfirstlane_b32 s5, v1
	s_cselect_b32 s0, s0, -1
	s_cmp_lg_u32 s0, 0
	s_cselect_b32 s0, s20, s4
	s_cselect_b32 s4, s21, s7
	s_cmp_gt_u32 s5, 8
	s_mov_b32 s7, 0
	s_cselect_b32 s5, -1, 0
	s_cmp_eq_u32 s1, 0
	s_cselect_b32 s1, s5, -1
	s_cmp_lg_u32 s1, 0
	s_cselect_b32 s0, s0, s2
	s_cselect_b32 s1, s4, s3
	s_add_u32 s34, s0, 1
	s_addc_u32 s35, s1, 0
	v_cmp_lt_u64_e64 s0, s[6:7], s[34:35]
	s_and_b32 vcc_lo, exec_lo, s0
	s_cbranch_vccnz .LBB0_5
; %bb.4:
	v_cvt_f32_u32_e32 v1, s34
	s_sub_i32 s1, 0, s34
	s_mov_b32 s9, s7
	v_rcp_iflag_f32_e32 v1, v1
	v_mul_f32_e32 v1, 0x4f7ffffe, v1
	v_cvt_u32_f32_e32 v1, v1
	v_readfirstlane_b32 s0, v1
	s_mul_i32 s1, s1, s0
	s_mul_hi_u32 s1, s0, s1
	s_add_i32 s0, s0, s1
	s_mul_hi_u32 s0, s6, s0
	s_mul_i32 s1, s0, s34
	s_add_i32 s2, s0, 1
	s_sub_i32 s1, s6, s1
	s_sub_i32 s3, s1, s34
	s_cmp_ge_u32 s1, s34
	s_cselect_b32 s0, s2, s0
	s_cselect_b32 s1, s3, s1
	s_add_i32 s2, s0, 1
	s_cmp_ge_u32 s1, s34
	s_cselect_b32 s8, s2, s0
.LBB0_5:
	s_load_dwordx4 s[20:23], s[14:15], 0x0
	s_load_dwordx4 s[0:3], s[26:27], 0x0
	s_mul_i32 s4, s8, s35
	s_mul_hi_u32 s5, s8, s34
	s_mul_i32 s30, s8, s34
	s_add_i32 s5, s5, s4
	s_sub_u32 s48, s6, s30
	s_subb_u32 s4, 0, s5
	v_cmp_lt_u64_e64 s31, s[10:11], 3
	s_mul_hi_u32 s33, s48, 9
	s_mul_i32 s4, s4, 9
	s_mul_i32 s48, s48, 9
	s_add_i32 s33, s33, s4
	s_and_b32 vcc_lo, exec_lo, s31
	s_waitcnt lgkmcnt(0)
	s_mul_i32 s4, s22, s33
	s_mul_hi_u32 s5, s22, s48
	s_mul_i32 s36, s2, s33
	s_mul_hi_u32 s37, s2, s48
	s_mul_i32 s31, s23, s48
	s_mul_i32 s38, s3, s48
	s_add_i32 s4, s5, s4
	s_add_i32 s5, s37, s36
	s_mul_i32 s30, s22, s48
	s_add_i32 s31, s4, s31
	s_add_i32 s5, s5, s38
	s_mul_i32 s4, s2, s48
	s_cbranch_vccnz .LBB0_15
; %bb.6:
	s_add_u32 s36, s26, 16
	s_addc_u32 s37, s27, 0
	s_add_u32 s38, s14, 16
	s_addc_u32 s39, s15, 0
	;; [unrolled: 2-line block ×3, first 2 shown]
	s_mov_b64 s[40:41], 2
	s_mov_b32 s42, 0
.LBB0_7:                                ; =>This Inner Loop Header: Depth=1
	s_load_dwordx2 s[44:45], s[12:13], 0x0
	s_waitcnt lgkmcnt(0)
	s_or_b64 s[46:47], s[8:9], s[44:45]
	s_mov_b32 s43, s47
                                        ; implicit-def: $sgpr46_sgpr47
	s_cmp_lg_u64 s[42:43], 0
	s_mov_b32 s43, -1
	s_cbranch_scc0 .LBB0_9
; %bb.8:                                ;   in Loop: Header=BB0_7 Depth=1
	v_cvt_f32_u32_e32 v1, s44
	v_cvt_f32_u32_e32 v2, s45
	s_sub_u32 s47, 0, s44
	s_subb_u32 s49, 0, s45
	v_fmac_f32_e32 v1, 0x4f800000, v2
	v_rcp_f32_e32 v1, v1
	v_mul_f32_e32 v1, 0x5f7ffffc, v1
	v_mul_f32_e32 v2, 0x2f800000, v1
	v_trunc_f32_e32 v2, v2
	v_fmac_f32_e32 v1, 0xcf800000, v2
	v_cvt_u32_f32_e32 v2, v2
	v_cvt_u32_f32_e32 v1, v1
	v_readfirstlane_b32 s43, v2
	v_readfirstlane_b32 s46, v1
	s_mul_i32 s50, s47, s43
	s_mul_hi_u32 s52, s47, s46
	s_mul_i32 s51, s49, s46
	s_add_i32 s50, s52, s50
	s_mul_i32 s53, s47, s46
	s_add_i32 s50, s50, s51
	s_mul_hi_u32 s52, s46, s53
	s_mul_hi_u32 s54, s43, s53
	s_mul_i32 s51, s43, s53
	s_mul_hi_u32 s53, s46, s50
	s_mul_i32 s46, s46, s50
	s_mul_hi_u32 s55, s43, s50
	s_add_u32 s46, s52, s46
	s_addc_u32 s52, 0, s53
	s_add_u32 s46, s46, s51
	s_mul_i32 s50, s43, s50
	s_addc_u32 s46, s52, s54
	s_addc_u32 s51, s55, 0
	s_add_u32 s46, s46, s50
	s_addc_u32 s50, 0, s51
	v_add_co_u32 v1, s46, v1, s46
	s_cmp_lg_u32 s46, 0
	s_addc_u32 s43, s43, s50
	v_readfirstlane_b32 s46, v1
	s_mul_i32 s50, s47, s43
	s_mul_hi_u32 s51, s47, s46
	s_mul_i32 s49, s49, s46
	s_add_i32 s50, s51, s50
	s_mul_i32 s47, s47, s46
	s_add_i32 s50, s50, s49
	s_mul_hi_u32 s51, s43, s47
	s_mul_i32 s52, s43, s47
	s_mul_hi_u32 s47, s46, s47
	s_mul_hi_u32 s53, s46, s50
	s_mul_i32 s46, s46, s50
	s_mul_hi_u32 s49, s43, s50
	s_add_u32 s46, s47, s46
	s_addc_u32 s47, 0, s53
	s_add_u32 s46, s46, s52
	s_mul_i32 s50, s43, s50
	s_addc_u32 s46, s47, s51
	s_addc_u32 s47, s49, 0
	s_add_u32 s46, s46, s50
	s_addc_u32 s47, 0, s47
	v_add_co_u32 v1, s46, v1, s46
	s_cmp_lg_u32 s46, 0
	s_addc_u32 s43, s43, s47
	v_readfirstlane_b32 s46, v1
	s_mul_i32 s49, s8, s43
	s_mul_hi_u32 s47, s8, s43
	s_mul_hi_u32 s50, s9, s43
	s_mul_i32 s43, s9, s43
	s_mul_hi_u32 s51, s8, s46
	s_mul_hi_u32 s52, s9, s46
	s_mul_i32 s46, s9, s46
	s_add_u32 s49, s51, s49
	s_addc_u32 s47, 0, s47
	s_add_u32 s46, s49, s46
	s_addc_u32 s46, s47, s52
	s_addc_u32 s47, s50, 0
	s_add_u32 s46, s46, s43
	s_addc_u32 s47, 0, s47
	s_mul_hi_u32 s43, s44, s46
	s_mul_i32 s50, s44, s47
	s_mul_i32 s51, s44, s46
	s_add_i32 s43, s43, s50
	v_sub_co_u32 v1, s50, s8, s51
	s_mul_i32 s49, s45, s46
	s_add_i32 s43, s43, s49
	v_sub_co_u32 v2, s51, v1, s44
	s_sub_i32 s49, s9, s43
	s_cmp_lg_u32 s50, 0
	s_subb_u32 s49, s49, s45
	s_cmp_lg_u32 s51, 0
	v_readfirstlane_b32 s51, v2
	s_subb_u32 s49, s49, 0
	s_cmp_ge_u32 s49, s45
	s_cselect_b32 s52, -1, 0
	s_cmp_ge_u32 s51, s44
	s_cselect_b32 s51, -1, 0
	s_cmp_eq_u32 s49, s45
	s_cselect_b32 s49, s51, s52
	s_add_u32 s51, s46, 1
	s_addc_u32 s52, s47, 0
	s_add_u32 s53, s46, 2
	s_addc_u32 s54, s47, 0
	s_cmp_lg_u32 s49, 0
	s_cselect_b32 s49, s53, s51
	s_cselect_b32 s51, s54, s52
	s_cmp_lg_u32 s50, 0
	v_readfirstlane_b32 s50, v1
	s_subb_u32 s43, s9, s43
	s_cmp_ge_u32 s43, s45
	s_cselect_b32 s52, -1, 0
	s_cmp_ge_u32 s50, s44
	s_cselect_b32 s50, -1, 0
	s_cmp_eq_u32 s43, s45
	s_cselect_b32 s43, s50, s52
	s_cmp_lg_u32 s43, 0
	s_mov_b32 s43, 0
	s_cselect_b32 s47, s51, s47
	s_cselect_b32 s46, s49, s46
.LBB0_9:                                ;   in Loop: Header=BB0_7 Depth=1
	s_andn2_b32 vcc_lo, exec_lo, s43
	s_cbranch_vccnz .LBB0_11
; %bb.10:                               ;   in Loop: Header=BB0_7 Depth=1
	v_cvt_f32_u32_e32 v1, s44
	s_sub_i32 s46, 0, s44
	v_rcp_iflag_f32_e32 v1, v1
	v_mul_f32_e32 v1, 0x4f7ffffe, v1
	v_cvt_u32_f32_e32 v1, v1
	v_readfirstlane_b32 s43, v1
	s_mul_i32 s46, s46, s43
	s_mul_hi_u32 s46, s43, s46
	s_add_i32 s43, s43, s46
	s_mul_hi_u32 s43, s8, s43
	s_mul_i32 s46, s43, s44
	s_add_i32 s47, s43, 1
	s_sub_i32 s46, s8, s46
	s_sub_i32 s49, s46, s44
	s_cmp_ge_u32 s46, s44
	s_cselect_b32 s43, s47, s43
	s_cselect_b32 s46, s49, s46
	s_add_i32 s47, s43, 1
	s_cmp_ge_u32 s46, s44
	s_cselect_b32 s46, s47, s43
	s_mov_b32 s47, s42
.LBB0_11:                               ;   in Loop: Header=BB0_7 Depth=1
	s_load_dwordx2 s[50:51], s[38:39], 0x0
	s_load_dwordx2 s[52:53], s[36:37], 0x0
	s_mul_i32 s35, s44, s35
	s_mul_hi_u32 s43, s44, s34
	s_mul_i32 s49, s45, s34
	s_mul_i32 s45, s46, s45
	s_mul_hi_u32 s54, s46, s44
	s_mul_i32 s55, s47, s44
	s_add_i32 s35, s43, s35
	s_add_i32 s43, s54, s45
	s_mul_i32 s56, s46, s44
	s_add_i32 s35, s35, s49
	s_add_i32 s43, s43, s55
	s_sub_u32 s8, s8, s56
	s_subb_u32 s9, s9, s43
	s_mul_i32 s34, s44, s34
	s_waitcnt lgkmcnt(0)
	s_mul_i32 s43, s50, s9
	s_mul_hi_u32 s45, s50, s8
	s_mul_i32 s49, s51, s8
	s_add_i32 s43, s45, s43
	s_mul_i32 s50, s50, s8
	s_mul_i32 s9, s52, s9
	s_mul_hi_u32 s45, s52, s8
	s_add_i32 s43, s43, s49
	s_add_u32 s30, s50, s30
	s_addc_u32 s31, s43, s31
	s_add_i32 s9, s45, s9
	s_mul_i32 s43, s53, s8
	s_mul_i32 s8, s52, s8
	s_add_i32 s9, s9, s43
	s_add_u32 s4, s8, s4
	s_addc_u32 s5, s9, s5
	s_add_u32 s40, s40, 1
	s_addc_u32 s41, s41, 0
	s_add_u32 s36, s36, 8
	v_cmp_ge_u64_e64 s8, s[40:41], s[10:11]
	s_addc_u32 s37, s37, 0
	s_add_u32 s38, s38, 8
	s_addc_u32 s39, s39, 0
	s_add_u32 s12, s12, 8
	s_addc_u32 s13, s13, 0
	s_and_b32 vcc_lo, exec_lo, s8
	s_cbranch_vccnz .LBB0_13
; %bb.12:                               ;   in Loop: Header=BB0_7 Depth=1
	s_mov_b64 s[8:9], s[46:47]
	s_branch .LBB0_7
.LBB0_13:
	v_cmp_lt_u64_e64 s7, s[6:7], s[34:35]
	s_mov_b64 s[8:9], 0
	s_and_b32 vcc_lo, exec_lo, s7
	s_cbranch_vccnz .LBB0_15
; %bb.14:
	v_cvt_f32_u32_e32 v1, s34
	s_sub_i32 s8, 0, s34
	v_rcp_iflag_f32_e32 v1, v1
	v_mul_f32_e32 v1, 0x4f7ffffe, v1
	v_cvt_u32_f32_e32 v1, v1
	v_readfirstlane_b32 s7, v1
	s_mul_i32 s8, s8, s7
	s_mul_hi_u32 s8, s7, s8
	s_add_i32 s7, s7, s8
	s_mul_hi_u32 s7, s6, s7
	s_mul_i32 s8, s7, s34
	s_sub_i32 s6, s6, s8
	s_add_i32 s8, s7, 1
	s_sub_i32 s9, s6, s34
	s_cmp_ge_u32 s6, s34
	s_cselect_b32 s7, s8, s7
	s_cselect_b32 s6, s9, s6
	s_add_i32 s8, s7, 1
	s_cmp_ge_u32 s6, s34
	s_cselect_b32 s8, s8, s7
.LBB0_15:
	v_mul_hi_u32 v4, 0x1c71c71d, v0
	s_lshl_b64 s[10:11], s[10:11], 3
	s_add_u32 s6, s26, s10
	s_addc_u32 s7, s27, s11
	s_add_u32 s12, s48, 9
	s_addc_u32 s13, s33, 0
	v_cmp_le_u64_e64 s9, s[12:13], s[28:29]
	v_mul_u32_u24_e32 v1, 9, v4
	v_lshlrev_b32_e32 v2, 4, v4
	v_or_b32_e32 v3, 0x60, v4
	v_sub_nc_u32_e32 v5, v0, v1
	v_add_nc_u32_e32 v1, 48, v4
	buffer_store_dword v2, off, s[60:63], 0 ; 4-byte Folded Spill
	v_or_b32_e32 v2, 32, v4
	buffer_store_dword v3, off, s[60:63], 0 offset:56 ; 4-byte Folded Spill
	v_add_nc_u32_e32 v3, 0x70, v4
	buffer_store_dword v1, off, s[60:63], 0 offset:72 ; 4-byte Folded Spill
	v_or_b32_e32 v1, 64, v4
	buffer_store_dword v2, off, s[60:63], 0 offset:68 ; 4-byte Folded Spill
	buffer_store_dword v3, off, s[60:63], 0 offset:52 ; 4-byte Folded Spill
	v_or_b32_e32 v3, 0x80, v4
	buffer_store_dword v1, off, s[60:63], 0 offset:64 ; 4-byte Folded Spill
	v_add_nc_u32_e32 v1, 0x50, v4
	buffer_store_dword v1, off, s[60:63], 0 offset:60 ; 4-byte Folded Spill
	v_add_co_u32 v1, s12, s48, v5
	v_add_co_ci_u32_e64 v2, null, s33, 0, s12
	buffer_store_dword v3, off, s[60:63], 0 offset:48 ; 4-byte Folded Spill
	buffer_store_dword v5, off, s[60:63], 0 offset:4 ; 4-byte Folded Spill
	v_mul_lo_u32 v3, 0xd00, v5
	v_cmp_gt_u64_e32 vcc_lo, s[28:29], v[1:2]
	v_add_nc_u32_e32 v1, 0x90, v4
	buffer_store_dword v1, off, s[60:63], 0 offset:44 ; 4-byte Folded Spill
	v_or_b32_e32 v1, 0xa0, v4
	buffer_store_dword v3, off, s[60:63], 0 offset:8 ; 4-byte Folded Spill
	s_or_b32 s9, s9, vcc_lo
	buffer_store_dword v1, off, s[60:63], 0 offset:40 ; 4-byte Folded Spill
	v_add_nc_u32_e32 v1, 0xb0, v4
	buffer_store_dword v1, off, s[60:63], 0 offset:36 ; 4-byte Folded Spill
	buffer_store_dword v4, off, s[60:63], 0 offset:76 ; 4-byte Folded Spill
	v_or_b32_e32 v1, 0xc0, v4
	buffer_store_dword v1, off, s[60:63], 0 offset:32 ; 4-byte Folded Spill
	s_and_saveexec_b32 s12, s9
	s_cbranch_execz .LBB0_17
; %bb.16:
	buffer_load_dword v9, off, s[60:63], 0 offset:4 ; 4-byte Folded Reload
	v_mul_hi_u32 v29, 0x1c71c71d, v0
	s_add_u32 s10, s14, s10
	s_addc_u32 s11, s15, s11
	s_load_dwordx2 s[10:11], s[10:11], 0x0
	v_add_nc_u32_e32 v12, 16, v29
	v_or_b32_e32 v13, 32, v29
	v_mad_u64_u32 v[3:4], null, s20, v29, 0
	v_add_nc_u32_e32 v31, 48, v29
	v_mad_u64_u32 v[5:6], null, s20, v12, 0
	v_mad_u64_u32 v[7:8], null, s20, v13, 0
	v_or_b32_e32 v33, 64, v29
	v_add_nc_u32_e32 v34, 0x50, v29
	v_or_b32_e32 v35, 0x60, v29
	v_or_b32_e32 v41, 0x80, v29
	v_add_nc_u32_e32 v36, 0x70, v29
	v_add_nc_u32_e32 v40, 0x90, v29
	v_mad_u64_u32 v[15:16], null, s20, v34, 0
	s_waitcnt lgkmcnt(0)
	s_mul_i32 s11, s11, s8
	s_mul_hi_u32 s13, s10, s8
	s_mul_i32 s10, s10, s8
	s_add_i32 s11, s13, s11
	v_mad_u64_u32 v[17:18], null, s20, v35, 0
	v_mad_u64_u32 v[21:22], null, s20, v41, 0
	v_or_b32_e32 v39, 0xc0, v29
	s_lshl_b64 s[10:11], s[10:11], 4
	v_mad_u64_u32 v[19:20], null, s20, v36, 0
	v_mad_u64_u32 v[23:24], null, s20, v40, 0
	v_or_b32_e32 v37, 0xa0, v29
	s_add_u32 s13, s16, s10
	v_add_nc_u32_e32 v38, 0xb0, v29
	s_addc_u32 s14, s17, s11
	s_lshl_b64 s[10:11], s[30:31], 4
	v_mad_u64_u32 v[25:26], null, s20, v37, 0
	s_add_u32 s10, s13, s10
	s_addc_u32 s11, s14, s11
	v_mad_u64_u32 v[27:28], null, s20, v38, 0
	s_waitcnt vmcnt(0)
	v_mad_u64_u32 v[1:2], null, s22, v9, 0
	v_mad_u64_u32 v[9:10], null, s23, v9, v[2:3]
	;; [unrolled: 1-line block ×5, first 2 shown]
	v_mov_b32_e32 v2, v9
	v_mad_u64_u32 v[8:9], null, s21, v13, v[8:9]
	v_mad_u64_u32 v[13:14], null, s20, v33, 0
	v_mov_b32_e32 v6, v11
	v_mad_u64_u32 v[11:12], null, s20, v31, 0
	v_mov_b32_e32 v4, v10
	v_lshlrev_b64 v[1:2], 4, v[1:2]
	v_lshlrev_b64 v[3:4], 4, v[3:4]
	v_mad_u64_u32 v[31:32], null, s21, v31, v[12:13]
	v_mad_u64_u32 v[32:33], null, s21, v33, v[14:15]
	v_add_co_u32 v49, vcc_lo, s10, v1
	v_mad_u64_u32 v[33:34], null, s21, v34, v[16:17]
	v_mov_b32_e32 v16, v22
	v_mad_u64_u32 v[34:35], null, s21, v35, v[18:19]
	v_mov_b32_e32 v18, v24
	v_add_co_ci_u32_e32 v50, vcc_lo, s11, v2, vcc_lo
	v_lshlrev_b64 v[1:2], 4, v[5:6]
	v_mov_b32_e32 v12, v31
	v_add_co_u32 v3, vcc_lo, v49, v3
	v_lshlrev_b64 v[5:6], 4, v[7:8]
	v_mov_b32_e32 v24, v30
	v_mad_u64_u32 v[30:31], null, s21, v41, v[16:17]
	v_mov_b32_e32 v14, v32
	v_mad_u64_u32 v[31:32], null, s21, v40, v[18:19]
	v_add_co_ci_u32_e32 v4, vcc_lo, v50, v4, vcc_lo
	v_mad_u64_u32 v[35:36], null, s21, v36, v[20:21]
	v_mov_b32_e32 v20, v26
	v_add_co_u32 v7, vcc_lo, v49, v1
	v_mov_b32_e32 v22, v28
	v_lshlrev_b64 v[11:12], 4, v[11:12]
	v_mov_b32_e32 v16, v33
	v_add_co_ci_u32_e32 v8, vcc_lo, v50, v2, vcc_lo
	v_add_co_u32 v9, vcc_lo, v49, v5
	v_lshlrev_b64 v[13:14], 4, v[13:14]
	v_mad_u64_u32 v[36:37], null, s21, v37, v[20:21]
	v_mov_b32_e32 v18, v34
	v_add_co_ci_u32_e32 v10, vcc_lo, v50, v6, vcc_lo
	v_mad_u64_u32 v[37:38], null, s21, v38, v[22:23]
	v_mad_u64_u32 v[38:39], null, s21, v39, v[24:25]
	v_mov_b32_e32 v24, v31
	v_lshlrev_b64 v[15:16], 4, v[15:16]
	v_add_co_u32 v31, vcc_lo, v49, v11
	v_mov_b32_e32 v20, v35
	v_add_co_ci_u32_e32 v32, vcc_lo, v50, v12, vcc_lo
	v_lshlrev_b64 v[17:18], 4, v[17:18]
	v_add_co_u32 v33, vcc_lo, v49, v13
	v_mov_b32_e32 v22, v30
	v_add_co_ci_u32_e32 v34, vcc_lo, v50, v14, vcc_lo
	;; [unrolled: 4-line block ×3, first 2 shown]
	v_mov_b32_e32 v28, v37
	v_lshlrev_b64 v[21:22], 4, v[21:22]
	v_add_co_u32 v37, vcc_lo, v49, v17
	v_mov_b32_e32 v30, v38
	v_add_co_ci_u32_e32 v38, vcc_lo, v50, v18, vcc_lo
	v_lshlrev_b64 v[23:24], 4, v[23:24]
	v_add_co_u32 v39, vcc_lo, v49, v19
	v_add_co_ci_u32_e32 v40, vcc_lo, v50, v20, vcc_lo
	v_lshlrev_b64 v[25:26], 4, v[25:26]
	v_add_co_u32 v41, vcc_lo, v49, v21
	;; [unrolled: 3-line block ×4, first 2 shown]
	v_add_co_ci_u32_e32 v46, vcc_lo, v50, v26, vcc_lo
	v_add_co_u32 v47, vcc_lo, v49, v27
	v_add_co_ci_u32_e32 v48, vcc_lo, v50, v28, vcc_lo
	v_add_co_u32 v49, vcc_lo, v49, v29
	v_add_co_ci_u32_e32 v50, vcc_lo, v50, v30, vcc_lo
	s_clause 0xc
	global_load_dwordx4 v[1:4], v[3:4], off
	global_load_dwordx4 v[5:8], v[7:8], off
	;; [unrolled: 1-line block ×13, first 2 shown]
	s_clause 0x1
	buffer_load_dword v53, off, s[60:63], 0
	buffer_load_dword v54, off, s[60:63], 0 offset:8
	s_waitcnt vmcnt(0)
	v_add3_u32 v53, 0, v54, v53
	ds_write_b128 v53, v[1:4]
	ds_write_b128 v53, v[5:8] offset:256
	ds_write_b128 v53, v[9:12] offset:512
	;; [unrolled: 1-line block ×12, first 2 shown]
.LBB0_17:
	s_or_b32 exec_lo, exec_lo, s12
	s_add_u32 s10, 0, 0x71c4fc00
	s_addc_u32 s11, 0, 0x7c
	s_mul_hi_u32 s13, s10, -9
	s_add_i32 s11, s11, 0x1c71c6a0
	s_sub_i32 s13, s13, s10
	s_mul_i32 s14, s11, -9
	s_mul_i32 s12, s10, -9
	s_add_i32 s13, s13, s14
	s_mul_hi_u32 s15, s11, s12
	s_mul_i32 s14, s11, s12
	s_mul_i32 s16, s10, s13
	s_mul_hi_u32 s12, s10, s12
	s_mul_hi_u32 s17, s10, s13
	s_add_u32 s12, s12, s16
	s_addc_u32 s16, 0, s17
	s_mul_hi_u32 s17, s11, s13
	s_add_u32 s12, s12, s14
	s_addc_u32 s12, s16, s15
	s_mul_i32 s13, s11, s13
	v_lshrrev_b32_e32 v1, 4, v0
	s_addc_u32 s14, s17, 0
	s_add_u32 s12, s12, s13
	v_and_b32_e32 v69, 15, v0
	v_add_co_u32 v3, s10, s10, s12
	s_addc_u32 s12, 0, s14
	s_cmp_lg_u32 s10, 0
	v_add_co_u32 v68, s10, s48, v1
	v_add_co_ci_u32_e64 v5, null, s33, 0, s10
	s_addc_u32 s10, s11, s12
	v_mul_hi_u32 v6, v68, v3
	v_mad_u64_u32 v[1:2], null, v68, s10, 0
	v_mad_u64_u32 v[3:4], null, v5, v3, 0
	s_load_dwordx2 s[6:7], s[6:7], 0x0
	s_waitcnt lgkmcnt(0)
	s_waitcnt_vscnt null, 0x0
	s_barrier
	buffer_gl0_inv
	v_add_co_u32 v6, vcc_lo, v6, v1
	v_add_co_ci_u32_e32 v7, vcc_lo, 0, v2, vcc_lo
	v_mad_u64_u32 v[1:2], null, v5, s10, 0
	v_add_co_u32 v3, vcc_lo, v6, v3
	v_add_co_ci_u32_e32 v3, vcc_lo, v7, v4, vcc_lo
	s_mov_b32 s36, 0x4267c47c
	s_mov_b32 s42, 0xe00740e9
	v_add_co_ci_u32_e32 v2, vcc_lo, 0, v2, vcc_lo
	v_add_co_u32 v1, vcc_lo, v3, v1
	s_mov_b32 s37, 0xbfddbe06
	v_add_co_ci_u32_e32 v3, vcc_lo, 0, v2, vcc_lo
	v_mad_u64_u32 v[1:2], null, v1, 9, 0
	s_mov_b32 s43, 0x3fec55a7
	s_mov_b32 s22, 0x42a4c3d2
	;; [unrolled: 1-line block ×6, first 2 shown]
	v_mad_u64_u32 v[2:3], null, v3, 9, v[2:3]
	v_sub_co_u32 v1, vcc_lo, v68, v1
	s_mov_b32 s46, s36
	s_mov_b32 s14, 0x66966769
	;; [unrolled: 1-line block ×4, first 2 shown]
	v_sub_co_ci_u32_e32 v0, vcc_lo, v5, v2, vcc_lo
	v_sub_co_u32 v2, vcc_lo, v1, 9
	s_mov_b32 s28, 0xb2365da1
	v_subrev_co_ci_u32_e32 v3, vcc_lo, 0, v0, vcc_lo
	v_cmp_lt_u32_e32 vcc_lo, 8, v2
	s_mov_b32 s15, 0xbfefc445
	s_mov_b32 s13, 0xbfedeba7
	;; [unrolled: 1-line block ×4, first 2 shown]
	v_cndmask_b32_e64 v4, 0, -1, vcc_lo
	v_cmp_lt_u32_e32 vcc_lo, 8, v1
	s_mov_b32 s35, 0x3fea55e2
	s_mov_b32 s34, s22
	;; [unrolled: 1-line block ×4, first 2 shown]
	v_cndmask_b32_e64 v5, 0, -1, vcc_lo
	v_cmp_eq_u32_e32 vcc_lo, 0, v3
	s_mov_b32 s11, 0xbfcea1e5
	s_mov_b32 s17, 0xbfef11f4
	;; [unrolled: 1-line block ×4, first 2 shown]
	v_cndmask_b32_e32 v3, -1, v4, vcc_lo
	v_cmp_eq_u32_e32 vcc_lo, 0, v0
	v_add_nc_u32_e32 v4, -9, v2
	s_mov_b32 s38, s14
	s_mov_b32 s44, s12
	;; [unrolled: 1-line block ×3, first 2 shown]
	v_cndmask_b32_e32 v0, -1, v5, vcc_lo
	v_cmp_ne_u32_e32 vcc_lo, 0, v3
	s_mov_b32 s40, 0xd0032e0c
	s_mov_b32 s27, 0xbfe5384d
	;; [unrolled: 1-line block ×4, first 2 shown]
	v_cndmask_b32_e32 v2, v2, v4, vcc_lo
	v_cmp_ne_u32_e32 vcc_lo, 0, v0
	s_mov_b32 s48, s10
	s_mov_b32 s51, 0x3fe5384d
	;; [unrolled: 1-line block ×3, first 2 shown]
	v_cndmask_b32_e32 v0, v1, v2, vcc_lo
	v_lshlrev_b32_e32 v1, 4, v69
	v_cmp_gt_u32_e32 vcc_lo, 13, v69
	v_mul_u32_u24_e32 v0, 0xd0, v0
	v_lshlrev_b32_e32 v0, 4, v0
	v_add_nc_u32_e32 v70, 0, v0
	v_add3_u32 v66, 0, v1, v0
	v_add_nc_u32_e32 v0, v70, v1
	buffer_store_dword v0, off, s[60:63], 0 offset:12 ; 4-byte Folded Spill
	ds_read_b128 v[0:3], v0
	ds_read_b128 v[4:7], v66 offset:256
	ds_read_b128 v[71:74], v66 offset:1024
	;; [unrolled: 1-line block ×12, first 2 shown]
	s_waitcnt lgkmcnt(0)
	s_waitcnt_vscnt null, 0x0
	s_barrier
	buffer_gl0_inv
	v_add_f64 v[28:29], v[0:1], v[4:5]
	v_add_f64 v[32:33], v[2:3], v[6:7]
	v_add_f64 v[20:21], v[71:72], v[79:80]
	v_add_f64 v[62:63], v[93:94], -v[85:86]
	v_add_f64 v[60:61], v[93:94], v[85:86]
	v_add_f64 v[36:37], v[91:92], v[83:84]
	v_add_f64 v[38:39], v[91:92], -v[83:84]
	v_add_f64 v[30:31], v[73:74], v[81:82]
	v_add_f64 v[22:23], v[71:72], -v[79:80]
	v_add_f64 v[34:35], v[73:74], -v[81:82]
	;; [unrolled: 1-line block ×3, first 2 shown]
	v_add_f64 v[6:7], v[6:7], v[109:110]
	v_add_f64 v[111:112], v[42:43], -v[89:90]
	v_add_f64 v[64:65], v[42:43], v[89:90]
	v_add_f64 v[119:120], v[4:5], v[107:108]
	v_add_f64 v[4:5], v[4:5], -v[107:108]
	v_add_f64 v[46:47], v[40:41], v[87:88]
	v_add_f64 v[48:49], v[40:41], -v[87:88]
	v_add_f64 v[12:13], v[95:96], v[75:76]
	v_add_f64 v[24:25], v[97:98], v[77:78]
	v_add_f64 v[26:27], v[97:98], -v[77:78]
	v_add_f64 v[14:15], v[95:96], -v[75:76]
	v_add_f64 v[113:114], v[28:29], v[40:41]
	v_add_f64 v[115:116], v[32:33], v[42:43]
	v_add_f64 v[18:19], v[101:102], -v[105:106]
	v_mul_f64 v[52:53], v[62:63], s[14:15]
	v_mul_f64 v[54:55], v[60:61], s[20:21]
	v_add_f64 v[16:17], v[101:102], v[105:106]
	v_mul_f64 v[141:142], v[62:63], s[44:45]
	v_mul_f64 v[50:51], v[30:31], s[28:29]
	;; [unrolled: 1-line block ×16, first 2 shown]
	v_add_f64 v[91:92], v[113:114], v[91:92]
	v_add_f64 v[93:94], v[115:116], v[93:94]
	v_mul_f64 v[113:114], v[62:63], s[10:11]
	v_mul_f64 v[115:116], v[60:61], s[16:17]
	v_fma_f64 v[193:194], v[36:37], s[20:21], v[52:53]
	v_fma_f64 v[195:196], v[38:39], s[38:39], v[54:55]
	v_mul_f64 v[40:41], v[26:27], s[26:27]
	v_mul_f64 v[42:43], v[24:25], s[40:41]
	;; [unrolled: 1-line block ×4, first 2 shown]
	v_fma_f64 v[219:220], v[119:120], s[42:43], v[173:174]
	v_fma_f64 v[227:228], v[4:5], s[46:47], v[183:184]
	v_mul_f64 v[181:182], v[117:118], s[26:27]
	v_mul_f64 v[117:118], v[117:118], s[10:11]
	v_fma_f64 v[229:230], v[119:120], s[30:31], v[175:176]
	v_fma_f64 v[231:232], v[4:5], s[34:35], v[185:186]
	v_fma_f64 v[175:176], v[119:120], s[30:31], -v[175:176]
	v_fma_f64 v[185:186], v[4:5], s[22:23], v[185:186]
	v_fma_f64 v[209:210], v[46:47], s[28:29], v[121:122]
	v_fma_f64 v[211:212], v[48:49], s[44:45], v[123:124]
	v_fma_f64 v[121:122], v[46:47], s[28:29], -v[121:122]
	v_fma_f64 v[123:124], v[48:49], s[12:13], v[123:124]
	v_add_f64 v[71:72], v[91:92], v[71:72]
	v_add_f64 v[73:74], v[93:94], v[73:74]
	v_fma_f64 v[245:246], v[119:120], s[20:21], v[177:178]
	v_fma_f64 v[247:248], v[4:5], s[38:39], v[187:188]
	v_fma_f64 v[177:178], v[119:120], s[20:21], -v[177:178]
	v_fma_f64 v[187:188], v[4:5], s[14:15], v[187:188]
	v_mul_f64 v[189:190], v[6:7], s[28:29]
	v_mul_f64 v[191:192], v[6:7], s[40:41]
	;; [unrolled: 1-line block ×3, first 2 shown]
	v_fma_f64 v[197:198], v[20:21], s[28:29], v[44:45]
	v_add_f64 v[219:220], v[0:1], v[219:220]
	v_add_f64 v[227:228], v[2:3], v[227:228]
	v_fma_f64 v[199:200], v[22:23], s[44:45], v[50:51]
	v_fma_f64 v[213:214], v[36:37], s[16:17], v[113:114]
	;; [unrolled: 1-line block ×3, first 2 shown]
	v_fma_f64 v[113:114], v[36:37], s[16:17], -v[113:114]
	v_add_f64 v[175:176], v[0:1], v[175:176]
	v_add_f64 v[185:186], v[2:3], v[185:186]
	v_fma_f64 v[115:116], v[38:39], s[10:11], v[115:116]
	v_fma_f64 v[233:234], v[46:47], s[16:17], v[137:138]
	;; [unrolled: 1-line block ×3, first 2 shown]
	v_fma_f64 v[137:138], v[46:47], s[16:17], -v[137:138]
	v_add_f64 v[71:72], v[71:72], v[95:96]
	v_add_f64 v[73:74], v[73:74], v[97:98]
	v_fma_f64 v[95:96], v[46:47], s[30:31], v[56:57]
	v_fma_f64 v[97:98], v[48:49], s[34:35], v[58:59]
	;; [unrolled: 1-line block ×3, first 2 shown]
	v_add_f64 v[229:230], v[0:1], v[229:230]
	v_add_f64 v[231:232], v[2:3], v[231:232]
	v_add_f64 v[177:178], v[0:1], v[177:178]
	v_add_f64 v[187:188], v[2:3], v[187:188]
	v_add_f64 v[8:9], v[99:100], v[103:104]
	v_add_f64 v[10:11], v[99:100], -v[103:104]
	v_mul_f64 v[28:29], v[18:19], s[10:11]
	v_mul_f64 v[32:33], v[16:17], s[16:17]
	;; [unrolled: 1-line block ×5, first 2 shown]
	v_add_f64 v[121:122], v[121:122], v[175:176]
	v_add_f64 v[123:124], v[123:124], v[185:186]
	v_mul_f64 v[147:148], v[30:31], s[42:43]
	v_mul_f64 v[157:158], v[111:112], s[50:51]
	;; [unrolled: 1-line block ×3, first 2 shown]
	v_fma_f64 v[201:202], v[12:13], s[40:41], v[40:41]
	v_add_f64 v[71:72], v[71:72], v[99:100]
	v_add_f64 v[73:74], v[73:74], v[101:102]
	;; [unrolled: 1-line block ×4, first 2 shown]
	v_fma_f64 v[203:204], v[14:15], s[50:51], v[42:43]
	v_fma_f64 v[221:222], v[22:23], s[26:27], v[127:128]
	;; [unrolled: 1-line block ×5, first 2 shown]
	v_fma_f64 v[141:142], v[36:37], s[28:29], -v[141:142]
	v_fma_f64 v[143:144], v[38:39], s[44:45], v[143:144]
	v_add_f64 v[209:210], v[209:210], v[229:230]
	v_fma_f64 v[229:230], v[119:120], s[28:29], v[179:180]
	v_add_f64 v[211:212], v[211:212], v[231:232]
	v_fma_f64 v[231:232], v[4:5], s[44:45], v[189:190]
	v_fma_f64 v[175:176], v[119:120], s[16:17], v[117:118]
	v_fma_f64 v[117:118], v[119:120], s[16:17], -v[117:118]
	v_add_f64 v[137:138], v[137:138], v[177:178]
	v_add_f64 v[139:140], v[139:140], v[187:188]
	v_mul_f64 v[129:130], v[26:27], s[38:39]
	v_mul_f64 v[149:150], v[26:27], s[22:23]
	;; [unrolled: 1-line block ×3, first 2 shown]
	v_add_f64 v[71:72], v[71:72], v[103:104]
	v_add_f64 v[73:74], v[73:74], v[105:106]
	;; [unrolled: 1-line block ×4, first 2 shown]
	v_mul_f64 v[91:92], v[62:63], s[46:47]
	v_mul_f64 v[93:94], v[60:61], s[42:43]
	v_mul_f64 v[169:170], v[111:112], s[38:39]
	v_mul_f64 v[171:172], v[64:65], s[20:21]
	v_fma_f64 v[205:206], v[8:9], s[16:17], v[28:29]
	v_fma_f64 v[207:208], v[10:11], s[48:49], v[32:33]
	;; [unrolled: 1-line block ×4, first 2 shown]
	v_fma_f64 v[125:126], v[20:21], s[40:41], -v[125:126]
	v_fma_f64 v[131:132], v[14:15], s[38:39], v[131:132]
	v_fma_f64 v[241:242], v[20:21], s[42:43], v[145:146]
	;; [unrolled: 1-line block ×3, first 2 shown]
	v_fma_f64 v[145:146], v[20:21], s[42:43], -v[145:146]
	v_fma_f64 v[147:148], v[22:23], s[46:47], v[147:148]
	v_add_f64 v[137:138], v[141:142], v[137:138]
	v_add_f64 v[139:140], v[143:144], v[139:140]
	;; [unrolled: 1-line block ×8, first 2 shown]
	v_fma_f64 v[75:76], v[46:47], s[40:41], v[157:158]
	v_fma_f64 v[77:78], v[48:49], s[26:27], v[159:160]
	v_fma_f64 v[157:158], v[46:47], s[40:41], -v[157:158]
	v_fma_f64 v[159:160], v[48:49], s[50:51], v[159:160]
	v_mul_f64 v[133:134], v[18:19], s[46:47]
	v_mul_f64 v[135:136], v[16:17], s[42:43]
	;; [unrolled: 1-line block ×4, first 2 shown]
	v_fma_f64 v[223:224], v[12:13], s[20:21], v[129:130]
	v_fma_f64 v[129:130], v[12:13], s[20:21], -v[129:130]
	v_fma_f64 v[103:104], v[12:13], s[30:31], v[149:150]
	v_fma_f64 v[105:106], v[14:15], s[34:35], v[151:152]
	v_fma_f64 v[149:150], v[12:13], s[30:31], -v[149:150]
	v_fma_f64 v[151:152], v[14:15], s[22:23], v[151:152]
	v_fma_f64 v[219:220], v[36:37], s[42:43], v[91:92]
	v_add_f64 v[185:186], v[2:3], v[231:232]
	v_add_f64 v[117:118], v[0:1], v[117:118]
	v_add_f64 v[137:138], v[145:146], v[137:138]
	v_add_f64 v[71:72], v[71:72], v[79:80]
	v_add_f64 v[73:74], v[73:74], v[81:82]
	v_fma_f64 v[79:80], v[119:120], s[42:43], -v[173:174]
	v_fma_f64 v[81:82], v[119:120], s[28:29], -v[179:180]
	v_fma_f64 v[173:174], v[119:120], s[40:41], v[181:182]
	v_fma_f64 v[179:180], v[119:120], s[40:41], -v[181:182]
	v_fma_f64 v[181:182], v[4:5], s[36:37], v[183:184]
	v_fma_f64 v[119:120], v[4:5], s[12:13], v[189:190]
	v_add_f64 v[95:96], v[201:202], v[95:96]
	v_add_f64 v[97:98], v[203:204], v[97:98]
	;; [unrolled: 1-line block ×4, first 2 shown]
	v_mul_f64 v[111:112], v[111:112], s[46:47]
	v_mul_f64 v[64:65], v[64:65], s[42:43]
	v_add_f64 v[189:190], v[233:234], v[245:246]
	v_add_f64 v[195:196], v[235:236], v[247:248]
	v_mul_f64 v[153:154], v[18:19], s[26:27]
	v_mul_f64 v[155:156], v[16:17], s[40:41]
	v_fma_f64 v[99:100], v[8:9], s[42:43], v[133:134]
	v_fma_f64 v[101:102], v[10:11], s[36:37], v[135:136]
	;; [unrolled: 1-line block ×3, first 2 shown]
	v_add_f64 v[77:78], v[77:78], v[185:186]
	v_add_f64 v[71:72], v[71:72], v[83:84]
	;; [unrolled: 1-line block ×3, first 2 shown]
	v_fma_f64 v[83:84], v[4:5], s[50:51], v[191:192]
	v_fma_f64 v[85:86], v[4:5], s[26:27], v[191:192]
	;; [unrolled: 1-line block ×4, first 2 shown]
	v_add_f64 v[6:7], v[113:114], v[121:122]
	v_add_f64 v[113:114], v[115:116], v[123:124]
	v_add_f64 v[81:82], v[0:1], v[81:82]
	v_add_f64 v[119:120], v[2:3], v[119:120]
	v_add_f64 v[79:80], v[0:1], v[79:80]
	v_add_f64 v[115:116], v[2:3], v[181:182]
	v_add_f64 v[75:76], v[75:76], v[183:184]
	v_mul_f64 v[165:166], v[26:27], s[48:49]
	v_add_f64 v[121:122], v[237:238], v[189:190]
	v_add_f64 v[123:124], v[239:240], v[195:196]
	v_fma_f64 v[145:146], v[8:9], s[40:41], -v[153:154]
	v_fma_f64 v[147:148], v[10:11], s[26:27], v[155:156]
	v_mul_f64 v[167:168], v[24:25], s[16:17]
	v_fma_f64 v[249:250], v[20:21], s[20:21], v[161:162]
	v_fma_f64 v[193:194], v[22:23], s[38:39], v[163:164]
	v_add_f64 v[77:78], v[227:228], v[77:78]
	v_add_f64 v[71:72], v[71:72], v[87:88]
	;; [unrolled: 1-line block ×14, first 2 shown]
	v_fma_f64 v[97:98], v[46:47], s[20:21], v[169:170]
	v_add_f64 v[75:76], v[219:220], v[75:76]
	v_add_f64 v[121:122], v[241:242], v[121:122]
	;; [unrolled: 1-line block ×10, first 2 shown]
	v_fma_f64 v[81:82], v[36:37], s[42:43], -v[91:92]
	v_fma_f64 v[91:92], v[38:39], s[46:47], v[93:94]
	v_fma_f64 v[107:108], v[48:49], s[14:15], v[171:172]
	v_add_f64 v[95:96], v[131:132], v[113:114]
	v_mul_f64 v[109:110], v[62:63], s[22:23]
	v_mul_f64 v[113:114], v[60:61], s[30:31]
	v_add_f64 v[93:94], v[129:130], v[125:126]
	v_fma_f64 v[119:120], v[8:9], s[42:43], -v[133:134]
	v_fma_f64 v[125:126], v[10:11], s[46:47], v[135:136]
	v_add_f64 v[133:134], v[149:150], v[137:138]
	v_add_f64 v[135:136], v[151:152], v[139:140]
	;; [unrolled: 1-line block ×3, first 2 shown]
	v_fma_f64 v[137:138], v[46:47], s[20:21], -v[169:170]
	v_fma_f64 v[139:140], v[48:49], s[38:39], v[171:172]
	v_fma_f64 v[149:150], v[46:47], s[42:43], v[111:112]
	;; [unrolled: 1-line block ×3, first 2 shown]
	v_mul_f64 v[62:63], v[62:63], s[26:27]
	v_mul_f64 v[60:61], v[60:61], s[40:41]
	v_fma_f64 v[111:112], v[46:47], s[42:43], -v[111:112]
	v_fma_f64 v[64:65], v[48:49], s[46:47], v[64:65]
	v_fma_f64 v[46:47], v[46:47], s[30:31], -v[56:57]
	v_fma_f64 v[48:49], v[48:49], s[22:23], v[58:59]
	v_add_f64 v[71:72], v[81:82], v[71:72]
	v_add_f64 v[73:74], v[91:92], v[73:74]
	v_fma_f64 v[81:82], v[20:21], s[20:21], -v[161:162]
	v_fma_f64 v[91:92], v[22:23], s[14:15], v[163:164]
	v_add_f64 v[83:84], v[107:108], v[83:84]
	v_fma_f64 v[97:98], v[36:37], s[30:31], v[109:110]
	v_fma_f64 v[107:108], v[38:39], s[34:35], v[113:114]
	;; [unrolled: 1-line block ×4, first 2 shown]
	v_mul_f64 v[153:154], v[34:35], s[48:49]
	v_mul_f64 v[155:156], v[30:31], s[16:17]
	;; [unrolled: 1-line block ×4, first 2 shown]
	v_add_f64 v[103:104], v[103:104], v[121:122]
	v_add_f64 v[105:106], v[105:106], v[123:124]
	;; [unrolled: 1-line block ×3, first 2 shown]
	v_fma_f64 v[121:122], v[12:13], s[16:17], v[165:166]
	v_fma_f64 v[123:124], v[14:15], s[10:11], v[167:168]
	v_add_f64 v[141:142], v[217:218], v[177:178]
	v_add_f64 v[64:65], v[64:65], v[175:176]
	;; [unrolled: 1-line block ×4, first 2 shown]
	v_mul_f64 v[79:80], v[26:27], s[46:47]
	v_mul_f64 v[115:116], v[24:25], s[42:43]
	v_add_f64 v[56:57], v[81:82], v[71:72]
	v_add_f64 v[58:59], v[91:92], v[73:74]
	v_add_f64 v[81:82], v[137:138], v[89:90]
	v_add_f64 v[71:72], v[97:98], v[87:88]
	v_add_f64 v[73:74], v[107:108], v[83:84]
	v_add_f64 v[83:84], v[139:140], v[85:86]
	v_fma_f64 v[85:86], v[36:37], s[30:31], -v[109:110]
	v_fma_f64 v[87:88], v[38:39], s[22:23], v[113:114]
	v_add_f64 v[89:90], v[149:150], v[127:128]
	v_add_f64 v[91:92], v[151:152], v[173:174]
	v_fma_f64 v[97:98], v[36:37], s[40:41], v[62:63]
	v_fma_f64 v[107:108], v[38:39], s[50:51], v[60:61]
	v_fma_f64 v[62:63], v[36:37], s[40:41], -v[62:63]
	v_fma_f64 v[60:61], v[38:39], s[26:27], v[60:61]
	v_fma_f64 v[36:37], v[36:37], s[20:21], -v[52:53]
	v_fma_f64 v[38:39], v[38:39], s[14:15], v[54:55]
	v_add_f64 v[109:110], v[111:112], v[117:118]
	v_fma_f64 v[111:112], v[20:21], s[16:17], v[153:154]
	v_fma_f64 v[113:114], v[22:23], s[10:11], v[155:156]
	v_mul_f64 v[26:27], v[26:27], s[12:13]
	v_mul_f64 v[24:25], v[24:25], s[28:29]
	v_fma_f64 v[52:53], v[12:13], s[16:17], -v[165:166]
	v_fma_f64 v[54:55], v[14:15], s[48:49], v[167:168]
	v_add_f64 v[143:144], v[221:222], v[187:188]
	v_add_f64 v[75:76], v[121:122], v[75:76]
	;; [unrolled: 1-line block ×3, first 2 shown]
	v_mul_f64 v[121:122], v[18:19], s[34:35]
	v_mul_f64 v[123:124], v[16:17], s[30:31]
	v_add_f64 v[81:82], v[85:86], v[81:82]
	v_add_f64 v[83:84], v[87:88], v[83:84]
	v_fma_f64 v[85:86], v[20:21], s[16:17], -v[153:154]
	v_fma_f64 v[87:88], v[22:23], s[48:49], v[155:156]
	v_add_f64 v[89:90], v[97:98], v[89:90]
	v_add_f64 v[91:92], v[107:108], v[91:92]
	v_fma_f64 v[97:98], v[20:21], s[30:31], v[34:35]
	v_fma_f64 v[107:108], v[22:23], s[22:23], v[30:31]
	v_fma_f64 v[34:35], v[20:21], s[30:31], -v[34:35]
	v_fma_f64 v[30:31], v[22:23], s[34:35], v[30:31]
	v_add_f64 v[36:37], v[36:37], v[46:47]
	v_add_f64 v[38:39], v[38:39], v[48:49]
	v_fma_f64 v[20:21], v[20:21], s[28:29], -v[44:45]
	v_fma_f64 v[22:23], v[22:23], s[12:13], v[50:51]
	v_add_f64 v[62:63], v[62:63], v[109:110]
	v_add_f64 v[60:61], v[60:61], v[64:65]
	;; [unrolled: 1-line block ×4, first 2 shown]
	v_fma_f64 v[44:45], v[12:13], s[42:43], v[79:80]
	v_fma_f64 v[46:47], v[14:15], s[36:37], v[115:116]
	v_mul_f64 v[48:49], v[18:19], s[12:13]
	v_mul_f64 v[50:51], v[16:17], s[28:29]
	v_fma_f64 v[79:80], v[12:13], s[42:43], -v[79:80]
	v_mul_f64 v[18:19], v[18:19], s[38:39]
	v_add_f64 v[73:74], v[85:86], v[81:82]
	v_add_f64 v[81:82], v[87:88], v[83:84]
	v_fma_f64 v[83:84], v[14:15], s[46:47], v[115:116]
	v_mul_f64 v[16:17], v[16:17], s[20:21]
	v_add_f64 v[85:86], v[97:98], v[89:90]
	v_add_f64 v[87:88], v[107:108], v[91:92]
	v_fma_f64 v[89:90], v[12:13], s[28:29], v[26:27]
	v_fma_f64 v[91:92], v[14:15], s[44:45], v[24:25]
	v_fma_f64 v[26:27], v[12:13], s[28:29], -v[26:27]
	v_fma_f64 v[24:25], v[14:15], s[12:13], v[24:25]
	v_add_f64 v[20:21], v[20:21], v[36:37]
	v_add_f64 v[22:23], v[22:23], v[38:39]
	v_fma_f64 v[12:13], v[12:13], s[40:41], -v[40:41]
	v_fma_f64 v[14:15], v[14:15], s[26:27], v[42:43]
	v_add_f64 v[34:35], v[34:35], v[62:63]
	v_add_f64 v[30:31], v[30:31], v[60:61]
	;; [unrolled: 1-line block ×5, first 2 shown]
	v_fma_f64 v[46:47], v[8:9], s[28:29], v[48:49]
	v_fma_f64 v[52:53], v[10:11], s[44:45], v[50:51]
	;; [unrolled: 1-line block ×3, first 2 shown]
	v_add_f64 v[141:142], v[223:224], v[141:142]
	v_add_f64 v[143:144], v[225:226], v[143:144]
	v_fma_f64 v[60:61], v[8:9], s[30:31], v[121:122]
	v_fma_f64 v[62:63], v[10:11], s[22:23], v[123:124]
	v_add_f64 v[38:39], v[54:55], v[58:59]
	v_fma_f64 v[40:41], v[8:9], s[30:31], -v[121:122]
	v_add_f64 v[64:65], v[89:90], v[85:86]
	v_add_f64 v[71:72], v[91:92], v[87:88]
	v_fma_f64 v[91:92], v[8:9], s[16:17], -v[28:29]
	v_add_f64 v[54:55], v[79:80], v[73:74]
	v_add_f64 v[56:57], v[83:84], v[81:82]
	v_fma_f64 v[58:59], v[8:9], s[28:29], -v[48:49]
	v_add_f64 v[87:88], v[12:13], v[20:21]
	v_add_f64 v[89:90], v[14:15], v[22:23]
	v_fma_f64 v[73:74], v[8:9], s[20:21], v[18:19]
	v_fma_f64 v[79:80], v[10:11], s[14:15], v[16:17]
	v_add_f64 v[26:27], v[26:27], v[34:35]
	v_add_f64 v[30:31], v[24:25], v[30:31]
	v_fma_f64 v[81:82], v[8:9], s[20:21], -v[18:19]
	v_fma_f64 v[83:84], v[10:11], s[38:39], v[16:17]
	v_fma_f64 v[50:51], v[10:11], s[12:13], v[50:51]
	;; [unrolled: 1-line block ×3, first 2 shown]
	v_add_f64 v[16:17], v[46:47], v[42:43]
	v_add_f64 v[18:19], v[52:53], v[44:45]
	;; [unrolled: 1-line block ×16, first 2 shown]
	v_mad_u32_u24 v52, 0xd0, v69, v70
                                        ; implicit-def: $vgpr58_vgpr59
                                        ; implicit-def: $vgpr62_vgpr63
	v_add_f64 v[40:41], v[81:82], v[26:27]
	v_add_f64 v[42:43], v[83:84], v[30:31]
	;; [unrolled: 1-line block ×6, first 2 shown]
	ds_write_b128 v52, v[0:3]
	ds_write_b128 v52, v[4:7] offset:16
	ds_write_b128 v52, v[8:11] offset:32
	;; [unrolled: 1-line block ×12, first 2 shown]
                                        ; implicit-def: $vgpr52_vgpr53
	s_waitcnt lgkmcnt(0)
	s_barrier
	buffer_gl0_inv
	buffer_store_dword v50, off, s[60:63], 0 offset:16 ; 4-byte Folded Spill
	buffer_store_dword v51, off, s[60:63], 0 offset:20 ; 4-byte Folded Spill
	;; [unrolled: 1-line block ×4, first 2 shown]
	s_and_saveexec_b32 s10, vcc_lo
	s_cbranch_execz .LBB0_19
; %bb.18:
	buffer_load_dword v0, off, s[60:63], 0 offset:12 ; 4-byte Folded Reload
	s_waitcnt vmcnt(0)
	ds_read_b128 v[0:3], v0
	ds_read_b128 v[4:7], v66 offset:208
	ds_read_b128 v[8:11], v66 offset:416
	;; [unrolled: 1-line block ×13, first 2 shown]
	s_waitcnt lgkmcnt(0)
	buffer_store_dword v52, off, s[60:63], 0 offset:16 ; 4-byte Folded Spill
	buffer_store_dword v53, off, s[60:63], 0 offset:20 ; 4-byte Folded Spill
	;; [unrolled: 1-line block ×4, first 2 shown]
	ds_read_b128 v[56:59], v66 offset:2912
	ds_read_b128 v[60:63], v66 offset:3120
.LBB0_19:
	s_or_b32 exec_lo, exec_lo, s10
	v_add_nc_u32_e32 v52, -13, v69
	v_mul_lo_u32 v53, v68, 13
	s_add_i32 s10, 0, 0x7500
	v_cndmask_b32_e32 v67, v52, v69, vcc_lo
	v_mul_lo_u32 v52, v67, v68
	v_and_b32_e32 v54, 63, v52
	v_lshrrev_b32_e32 v55, 2, v52
	v_lshrrev_b32_e32 v64, 8, v52
	v_add_nc_u32_e32 v52, v52, v53
	v_lshl_add_u32 v54, v54, 4, 0
	v_and_b32_e32 v55, 0x3f0, v55
	v_and_b32_e32 v64, 0x3f0, v64
	;; [unrolled: 1-line block ×3, first 2 shown]
	v_lshrrev_b32_e32 v68, 2, v52
	v_lshrrev_b32_e32 v69, 8, v52
	v_add_nc_u32_e32 v52, v52, v53
	v_add_nc_u32_e32 v55, s10, v55
	;; [unrolled: 1-line block ×3, first 2 shown]
	v_and_b32_e32 v68, 0x3f0, v68
	v_and_b32_e32 v69, 0x3f0, v69
	v_and_b32_e32 v70, 63, v52
	v_lshrrev_b32_e32 v71, 2, v52
	v_lshrrev_b32_e32 v72, 8, v52
	v_add_nc_u32_e32 v52, v52, v53
	v_lshl_add_u32 v65, v65, 4, 0
	v_lshl_add_u32 v73, v70, 4, 0
	v_and_b32_e32 v70, 0x3f0, v71
	v_and_b32_e32 v71, 0x3f0, v72
	v_add_nc_u32_e32 v74, v52, v53
	v_and_b32_e32 v72, 63, v52
	v_lshrrev_b32_e32 v75, 2, v52
	v_lshrrev_b32_e32 v52, 8, v52
	v_add_nc_u32_e32 v76, s10, v70
	v_lshrrev_b32_e32 v70, 2, v74
	v_add_nc_u32_e32 v77, s10, v71
	v_lshl_add_u32 v78, v72, 4, 0
	v_and_b32_e32 v71, 0x3f0, v75
	v_and_b32_e32 v52, 0x3f0, v52
	;; [unrolled: 1-line block ×3, first 2 shown]
	v_lshrrev_b32_e32 v75, 8, v74
	v_add_nc_u32_e32 v74, v74, v53
	v_and_b32_e32 v70, 0x3f0, v70
	v_add_nc_u32_e32 v79, s10, v71
	v_add_nc_u32_e32 v80, s10, v52
	v_and_b32_e32 v52, 0x3f0, v75
	v_lshrrev_b32_e32 v71, 2, v74
	v_add_nc_u32_e32 v82, s10, v70
	v_add_nc_u32_e32 v70, v74, v53
	v_lshl_add_u32 v81, v72, 4, 0
	v_and_b32_e32 v72, 63, v74
	v_lshrrev_b32_e32 v74, 8, v74
	v_add_nc_u32_e32 v83, s10, v52
	v_lshrrev_b32_e32 v52, 2, v70
	v_and_b32_e32 v71, 0x3f0, v71
	v_lshl_add_u32 v84, v72, 4, 0
	v_and_b32_e32 v72, 0x3f0, v74
	v_and_b32_e32 v74, 63, v70
	v_and_b32_e32 v52, 0x3f0, v52
	v_add_nc_u32_e32 v85, s10, v71
	v_lshrrev_b32_e32 v71, 8, v70
	v_add_nc_u32_e32 v70, v70, v53
	v_add_nc_u32_e32 v86, s10, v72
	;; [unrolled: 1-line block ×3, first 2 shown]
	v_lshl_add_u32 v88, v74, 4, 0
	v_and_b32_e32 v52, 0x3f0, v71
	v_add_nc_u32_e32 v71, v70, v53
	v_lshrrev_b32_e32 v72, 2, v70
	v_and_b32_e32 v74, 63, v70
	v_lshrrev_b32_e32 v70, 8, v70
	v_add_nc_u32_e32 v90, s10, v52
	v_lshrrev_b32_e32 v52, 2, v71
	v_and_b32_e32 v72, 0x3f0, v72
	v_lshl_add_u32 v92, v74, 4, 0
	v_and_b32_e32 v70, 0x3f0, v70
	v_and_b32_e32 v74, 63, v71
	;; [unrolled: 1-line block ×3, first 2 shown]
	v_add_nc_u32_e32 v93, s10, v72
	v_add_nc_u32_e32 v72, v71, v53
	v_lshrrev_b32_e32 v71, 8, v71
	v_add_nc_u32_e32 v94, s10, v70
	v_add_nc_u32_e32 v97, s10, v52
	v_lshl_add_u32 v96, v74, 4, 0
	v_lshrrev_b32_e32 v52, 2, v72
	v_and_b32_e32 v70, 0x3f0, v71
	v_and_b32_e32 v71, 63, v72
	v_add_nc_u32_e32 v74, v72, v53
	v_lshrrev_b32_e32 v72, 8, v72
	v_and_b32_e32 v52, 0x3f0, v52
	v_add_nc_u32_e32 v98, s10, v70
	v_lshl_add_u32 v100, v71, 4, 0
	v_lshrrev_b32_e32 v70, 2, v74
	v_and_b32_e32 v71, 0x3f0, v72
	v_add_nc_u32_e32 v101, s10, v52
	v_and_b32_e32 v52, 63, v74
	v_add_nc_u32_e32 v72, v74, v53
	v_and_b32_e32 v70, 0x3f0, v70
	v_lshrrev_b32_e32 v74, 8, v74
	v_add_nc_u32_e32 v102, s10, v71
	v_lshl_add_u32 v104, v52, 4, 0
	v_lshrrev_b32_e32 v52, 2, v72
	v_add_nc_u32_e32 v105, s10, v70
	v_and_b32_e32 v70, 0x3f0, v74
	v_and_b32_e32 v71, 63, v72
	v_add_nc_u32_e32 v74, v72, v53
	v_and_b32_e32 v52, 0x3f0, v52
	v_lshrrev_b32_e32 v72, 8, v72
	v_add_nc_u32_e32 v106, s10, v70
	v_lshl_add_u32 v108, v71, 4, 0
	v_lshrrev_b32_e32 v70, 2, v74
	v_add_nc_u32_e32 v109, s10, v52
	v_and_b32_e32 v52, 0x3f0, v72
	v_add_nc_u32_e32 v72, v74, v53
	v_and_b32_e32 v71, 63, v74
	v_and_b32_e32 v70, 0x3f0, v70
	v_lshrrev_b32_e32 v74, 8, v74
	v_add_nc_u32_e32 v110, s10, v52
	v_lshrrev_b32_e32 v52, 2, v72
	v_lshl_add_u32 v112, v71, 4, 0
	v_add_nc_u32_e32 v113, s10, v70
	v_and_b32_e32 v70, 0x3f0, v74
	v_lshrrev_b32_e32 v71, 8, v72
	v_and_b32_e32 v74, 63, v72
	v_and_b32_e32 v52, 0x3f0, v52
	v_add_nc_u32_e32 v72, v72, v53
	v_add_nc_u32_e32 v114, s10, v70
	v_and_b32_e32 v70, 0x3f0, v71
	v_add_nc_u32_e32 v68, s10, v68
	v_add_nc_u32_e32 v117, s10, v52
	v_and_b32_e32 v52, 63, v72
	v_add_nc_u32_e32 v53, v72, v53
	v_add_nc_u32_e32 v118, s10, v70
	v_lshrrev_b32_e32 v70, 2, v72
	v_lshrrev_b32_e32 v71, 8, v72
	v_lshl_add_u32 v120, v52, 4, 0
	v_lshrrev_b32_e32 v52, 2, v53
	v_lshrrev_b32_e32 v72, 8, v53
	v_and_b32_e32 v70, 0x3f0, v70
	v_and_b32_e32 v71, 0x3f0, v71
	v_and_b32_e32 v53, 63, v53
	v_and_b32_e32 v52, 0x3f0, v52
	v_and_b32_e32 v72, 0x3f0, v72
	v_add_nc_u32_e32 v69, s10, v69
	v_lshl_add_u32 v116, v74, 4, 0
	v_add_nc_u32_e32 v121, s10, v70
	v_add_nc_u32_e32 v122, s10, v71
	v_lshl_add_u32 v124, v53, 4, 0
	v_add_nc_u32_e32 v125, s10, v52
	v_add_nc_u32_e32 v126, s10, v72
	ds_read_b128 v[128:131], v54 offset:29952
	ds_read_b128 v[132:135], v55 offset:1024
	;; [unrolled: 1-line block ×48, first 2 shown]
	s_waitcnt lgkmcnt(0)
	s_waitcnt_vscnt null, 0x0
	s_barrier
	buffer_gl0_inv
	s_and_saveexec_b32 s22, vcc_lo
	s_cbranch_execz .LBB0_21
; %bb.20:
	v_mul_f64 v[64:65], v[250:251], v[254:255]
	s_mov_b32 s14, 0x667f3bcd
	s_mov_b32 s15, 0x3fe6a09e
	s_mov_b32 s21, 0xbfe6a09e
	s_mov_b32 s20, s14
	s_mov_b32 s16, 0xcf328d46
	s_mov_b32 s17, 0x3fed906b
	s_mov_b32 s10, 0xa6aea964
	s_mov_b32 s11, 0xbfd87de2
	s_mov_b32 s13, 0x3fd87de2
	s_mov_b32 s12, s10
	v_fma_f64 v[64:65], v[248:249], v[252:253], -v[64:65]
	buffer_store_dword v64, off, s[60:63], 0 offset:80 ; 4-byte Folded Spill
	buffer_store_dword v65, off, s[60:63], 0 offset:84 ; 4-byte Folded Spill
	v_mul_f64 v[64:65], v[248:249], v[254:255]
	v_fma_f64 v[248:249], v[250:251], v[252:253], v[64:65]
	v_mul_f64 v[64:65], v[242:243], v[246:247]
	v_fma_f64 v[250:251], v[240:241], v[244:245], -v[64:65]
	v_mul_f64 v[64:65], v[240:241], v[246:247]
	v_fma_f64 v[240:241], v[242:243], v[244:245], v[64:65]
	v_mul_f64 v[64:65], v[234:235], v[238:239]
	v_fma_f64 v[242:243], v[232:233], v[236:237], -v[64:65]
	;; [unrolled: 4-line block ×15, first 2 shown]
	v_mul_f64 v[128:129], v[128:129], v[134:135]
	v_fma_f64 v[140:141], v[130:131], v[132:133], v[128:129]
	v_mul_i32_i24_e32 v128, 15, v67
	v_mov_b32_e32 v129, 0
	v_lshlrev_b64 v[128:129], 4, v[128:129]
	v_add_co_u32 v142, vcc_lo, s24, v128
	v_add_co_ci_u32_e32 v143, vcc_lo, s25, v129, vcc_lo
	s_clause 0x1
	global_load_dwordx4 v[128:131], v[142:143], off offset:32
	global_load_dwordx4 v[132:135], v[142:143], off offset:48
	s_mov_b32 s25, 0xbfed906b
	s_mov_b32 s24, s16
	s_waitcnt vmcnt(1)
	v_mul_f64 v[148:149], v[20:21], v[130:131]
	v_fma_f64 v[148:149], v[22:23], v[128:129], -v[148:149]
	v_mul_f64 v[22:23], v[22:23], v[130:131]
	v_fma_f64 v[150:151], v[20:21], v[128:129], v[22:23]
	s_clause 0x1
	global_load_dwordx4 v[20:23], v[142:143], off offset:160
	global_load_dwordx4 v[128:131], v[142:143], off offset:176
	s_waitcnt vmcnt(1)
	v_mul_f64 v[156:157], v[48:49], v[22:23]
	v_mul_f64 v[22:23], v[50:51], v[22:23]
	v_fma_f64 v[156:157], v[50:51], v[20:21], -v[156:157]
	v_fma_f64 v[158:159], v[48:49], v[20:21], v[22:23]
	s_clause 0x1
	global_load_dwordx4 v[20:23], v[142:143], off offset:96
	global_load_dwordx4 v[48:51], v[142:143], off offset:112
	s_waitcnt vmcnt(1)
	v_mul_f64 v[164:165], v[42:43], v[22:23]
	v_mul_f64 v[22:23], v[40:41], v[22:23]
	v_fma_f64 v[164:165], v[40:41], v[20:21], v[164:165]
	v_fma_f64 v[166:167], v[42:43], v[20:21], -v[22:23]
	global_load_dwordx4 v[20:23], v[142:143], off offset:224
	s_waitcnt vmcnt(0)
	v_mul_f64 v[40:41], v[62:63], v[22:23]
	v_mul_f64 v[22:23], v[60:61], v[22:23]
	v_fma_f64 v[172:173], v[60:61], v[20:21], v[40:41]
	v_fma_f64 v[60:61], v[62:63], v[20:21], -v[22:23]
	s_clause 0x1
	global_load_dwordx4 v[20:23], v[142:143], off offset:80
	global_load_dwordx4 v[40:43], v[142:143], off offset:64
	v_add_f64 v[60:61], v[166:167], -v[60:61]
	s_waitcnt vmcnt(1)
	v_mul_f64 v[62:63], v[34:35], v[22:23]
	v_mul_f64 v[22:23], v[32:33], v[22:23]
	v_fma_f64 v[62:63], v[32:33], v[20:21], v[62:63]
	v_fma_f64 v[174:175], v[34:35], v[20:21], -v[22:23]
	s_clause 0x1
	global_load_dwordx4 v[20:23], v[142:143], off offset:208
	global_load_dwordx4 v[32:35], v[142:143], off offset:192
	s_waitcnt vmcnt(1)
	v_mul_f64 v[180:181], v[58:59], v[22:23]
	v_mul_f64 v[22:23], v[56:57], v[22:23]
	v_fma_f64 v[180:181], v[56:57], v[20:21], v[180:181]
	v_fma_f64 v[182:183], v[58:59], v[20:21], -v[22:23]
	s_clause 0x1
	global_load_dwordx4 v[20:23], v[142:143], off
	global_load_dwordx4 v[56:59], v[142:143], off offset:16
	s_waitcnt vmcnt(1)
	v_mul_f64 v[188:189], v[4:5], v[22:23]
	v_fma_f64 v[188:189], v[6:7], v[20:21], -v[188:189]
	v_mul_f64 v[6:7], v[6:7], v[22:23]
	v_fma_f64 v[190:191], v[4:5], v[20:21], v[6:7]
	s_clause 0x1
	global_load_dwordx4 v[4:7], v[142:143], off offset:128
	global_load_dwordx4 v[20:23], v[142:143], off offset:144
	s_waitcnt vmcnt(1)
	v_mul_f64 v[142:143], v[36:37], v[6:7]
	v_mul_f64 v[6:7], v[38:39], v[6:7]
	v_fma_f64 v[142:143], v[38:39], v[4:5], -v[142:143]
	v_fma_f64 v[4:5], v[36:37], v[4:5], v[6:7]
	v_mul_f64 v[6:7], v[18:19], v[42:43]
	v_fma_f64 v[36:37], v[16:17], v[40:41], v[6:7]
	v_mul_f64 v[6:7], v[16:17], v[42:43]
	v_mul_f64 v[42:43], v[216:217], v[110:111]
	v_fma_f64 v[16:17], v[18:19], v[40:41], -v[6:7]
	s_clause 0x3
	buffer_load_dword v38, off, s[60:63], 0 offset:16
	buffer_load_dword v39, off, s[60:63], 0 offset:20
	;; [unrolled: 1-line block ×4, first 2 shown]
	v_fma_f64 v[42:43], v[108:109], v[226:227], -v[42:43]
	s_waitcnt vmcnt(0)
	v_mul_f64 v[6:7], v[40:41], v[34:35]
	v_mul_f64 v[18:19], v[38:39], v[34:35]
	s_clause 0x1
	buffer_load_dword v34, off, s[60:63], 0 offset:80
	buffer_load_dword v35, off, s[60:63], 0 offset:84
	v_fma_f64 v[6:7], v[38:39], v[32:33], v[6:7]
	v_fma_f64 v[18:19], v[40:41], v[32:33], -v[18:19]
	v_mul_f64 v[32:33], v[26:27], v[50:51]
	v_mul_f64 v[38:39], v[232:233], v[118:119]
	;; [unrolled: 1-line block ×3, first 2 shown]
	v_add_f64 v[18:19], v[16:17], -v[18:19]
	v_fma_f64 v[32:33], v[24:25], v[48:49], v[32:33]
	v_mul_f64 v[24:25], v[24:25], v[50:51]
	v_mul_f64 v[50:51], v[208:209], v[106:107]
	v_fma_f64 v[40:41], v[112:113], v[224:225], v[40:41]
	v_fma_f64 v[16:17], v[16:17], 2.0, -v[18:19]
	v_fma_f64 v[24:25], v[26:27], v[48:49], -v[24:25]
	v_mul_f64 v[26:27], v[10:11], v[58:59]
	v_fma_f64 v[50:51], v[104:105], v[218:219], -v[50:51]
	v_mul_f64 v[48:49], v[226:227], v[110:111]
	v_add_f64 v[110:111], v[2:3], -v[24:25]
	v_fma_f64 v[26:27], v[8:9], v[56:57], v[26:27]
	v_mul_f64 v[8:9], v[8:9], v[58:59]
	v_mul_f64 v[58:59], v[200:201], v[102:103]
	;; [unrolled: 1-line block ×3, first 2 shown]
	v_add_f64 v[24:25], v[62:63], -v[180:181]
	v_fma_f64 v[48:49], v[108:109], v[216:217], v[48:49]
	v_add_f64 v[108:109], v[188:189], -v[142:143]
	v_fma_f64 v[8:9], v[10:11], v[56:57], -v[8:9]
	v_fma_f64 v[58:59], v[100:101], v[210:211], -v[58:59]
	v_fma_f64 v[100:101], v[100:101], v[200:201], v[102:103]
	v_mul_f64 v[102:103], v[192:193], v[98:99]
	v_mul_f64 v[10:11], v[30:31], v[22:23]
	v_mul_f64 v[22:23], v[28:29], v[22:23]
	v_mul_f64 v[56:57], v[218:219], v[106:107]
	v_add_f64 v[106:107], v[0:1], -v[32:33]
	v_add_f64 v[32:33], v[164:165], -v[172:173]
	v_fma_f64 v[102:103], v[96:97], v[64:65], -v[102:103]
	v_mul_f64 v[64:65], v[64:65], v[98:99]
	v_fma_f64 v[10:11], v[28:29], v[20:21], v[10:11]
	v_fma_f64 v[20:21], v[30:31], v[20:21], -v[22:23]
	v_mul_f64 v[22:23], v[12:13], v[134:135]
	v_mul_f64 v[28:29], v[46:47], v[130:131]
	;; [unrolled: 1-line block ×3, first 2 shown]
	v_add_f64 v[98:99], v[190:191], -v[4:5]
	v_fma_f64 v[56:57], v[104:105], v[208:209], v[56:57]
	v_fma_f64 v[64:65], v[96:97], v[192:193], v[64:65]
	v_mul_f64 v[96:97], v[184:185], v[94:95]
	v_mul_f64 v[94:95], v[194:195], v[94:95]
	v_fma_f64 v[22:23], v[14:15], v[132:133], -v[22:23]
	v_mul_f64 v[14:15], v[14:15], v[134:135]
	v_fma_f64 v[28:29], v[44:45], v[128:129], v[28:29]
	v_add_f64 v[104:105], v[26:27], -v[10:11]
	v_add_f64 v[10:11], v[174:175], -v[182:183]
	v_fma_f64 v[96:97], v[92:93], v[194:195], -v[96:97]
	v_fma_f64 v[92:93], v[92:93], v[184:185], v[94:95]
	v_mul_f64 v[94:95], v[176:177], v[90:91]
	v_mul_f64 v[90:91], v[186:187], v[90:91]
	v_fma_f64 v[12:13], v[12:13], v[132:133], v[14:15]
	v_mul_f64 v[14:15], v[44:45], v[130:131]
	v_fma_f64 v[44:45], v[116:117], v[242:243], -v[38:39]
	v_mul_f64 v[38:39], v[242:243], v[118:119]
	v_add_f64 v[130:131], v[104:105], v[10:11]
	v_fma_f64 v[10:11], v[174:175], 2.0, -v[10:11]
	v_fma_f64 v[26:27], v[26:27], 2.0, -v[104:105]
	v_fma_f64 v[94:95], v[88:89], v[186:187], -v[94:95]
	v_fma_f64 v[88:89], v[88:89], v[176:177], v[90:91]
	v_mul_f64 v[90:91], v[168:169], v[86:87]
	v_mul_f64 v[86:87], v[178:179], v[86:87]
	v_fma_f64 v[14:15], v[46:47], v[128:129], -v[14:15]
	v_fma_f64 v[46:47], v[116:117], v[232:233], v[38:39]
	v_mul_f64 v[38:39], v[224:225], v[114:115]
	v_add_f64 v[114:115], v[148:149], -v[156:157]
	v_add_f64 v[116:117], v[8:9], -v[20:21]
	;; [unrolled: 1-line block ×3, first 2 shown]
	v_fma_f64 v[90:91], v[84:85], v[178:179], -v[90:91]
	v_fma_f64 v[84:85], v[84:85], v[168:169], v[86:87]
	v_mul_f64 v[86:87], v[160:161], v[82:83]
	v_mul_f64 v[82:83], v[170:171], v[82:83]
	v_add_f64 v[14:15], v[22:23], -v[14:15]
	v_fma_f64 v[38:39], v[112:113], v[234:235], -v[38:39]
	v_add_f64 v[112:113], v[36:37], -v[6:7]
	v_add_f64 v[134:135], v[116:117], -v[24:25]
	v_fma_f64 v[86:87], v[80:81], v[170:171], -v[86:87]
	v_fma_f64 v[80:81], v[80:81], v[160:161], v[82:83]
	v_mul_f64 v[82:83], v[152:153], v[78:79]
	v_mul_f64 v[78:79], v[162:163], v[78:79]
	v_add_f64 v[132:133], v[106:107], v[14:15]
	v_add_f64 v[142:143], v[108:109], -v[112:113]
	v_fma_f64 v[14:15], v[22:23], 2.0, -v[14:15]
	v_fma_f64 v[22:23], v[62:63], 2.0, -v[24:25]
	;; [unrolled: 1-line block ×7, first 2 shown]
	v_fma_f64 v[82:83], v[76:77], v[162:163], -v[82:83]
	v_fma_f64 v[76:77], v[76:77], v[152:153], v[78:79]
	v_mul_f64 v[78:79], v[144:145], v[74:75]
	v_mul_f64 v[74:75], v[154:155], v[74:75]
	v_add_f64 v[112:113], v[36:37], -v[0:1]
	v_fma_f64 v[78:79], v[72:73], v[154:155], -v[78:79]
	v_fma_f64 v[72:73], v[72:73], v[144:145], v[74:75]
	v_mul_f64 v[74:75], v[136:137], v[70:71]
	v_mul_f64 v[70:71], v[146:147], v[70:71]
	s_waitcnt vmcnt(0)
	v_fma_f64 v[128:129], v[124:125], v[34:35], -v[30:31]
	v_mul_f64 v[30:31], v[34:35], v[126:127]
	v_mul_f64 v[34:35], v[250:251], v[122:123]
	v_fma_f64 v[74:75], v[68:69], v[146:147], -v[74:75]
	v_fma_f64 v[67:68], v[68:69], v[136:137], v[70:71]
	v_mul_f64 v[69:70], v[140:141], v[54:55]
	v_mul_f64 v[54:55], v[138:139], v[54:55]
	v_fma_f64 v[124:125], v[124:125], v[248:249], v[30:31]
	v_mul_f64 v[30:31], v[240:241], v[122:123]
	v_fma_f64 v[34:35], v[120:121], v[240:241], v[34:35]
	v_add_f64 v[122:123], v[114:115], -v[32:33]
	v_fma_f64 v[69:70], v[52:53], v[138:139], -v[69:70]
	v_fma_f64 v[52:53], v[52:53], v[140:141], v[54:55]
	v_add_f64 v[54:55], v[150:151], -v[158:159]
	v_add_f64 v[138:139], v[110:111], -v[20:21]
	v_fma_f64 v[20:21], v[148:149], 2.0, -v[114:115]
	v_add_f64 v[148:149], v[62:63], -v[16:17]
	v_fma_f64 v[30:31], v[120:121], v[250:251], -v[30:31]
	v_add_f64 v[120:121], v[98:99], v[18:19]
	v_fma_f64 v[18:19], v[164:165], 2.0, -v[32:33]
	v_fma_f64 v[32:33], v[2:3], 2.0, -v[110:111]
	v_add_f64 v[118:119], v[54:55], v[60:61]
	v_fma_f64 v[4:5], v[118:119], s[14:15], v[120:121]
	v_fma_f64 v[126:127], v[122:123], s[14:15], v[4:5]
	;; [unrolled: 1-line block ×12, first 2 shown]
	v_fma_f64 v[4:5], v[136:137], 2.0, -v[146:147]
	v_fma_f64 v[6:7], v[140:141], 2.0, -v[152:153]
	v_mul_f64 v[28:29], v[4:5], v[92:93]
	v_mul_f64 v[92:93], v[6:7], v[92:93]
	v_fma_f64 v[6:7], v[6:7], v[96:97], -v[28:29]
	v_fma_f64 v[28:29], v[166:167], 2.0, -v[60:61]
	v_fma_f64 v[60:61], v[8:9], 2.0, -v[116:117]
	v_fma_f64 v[4:5], v[4:5], v[96:97], v[92:93]
	v_fma_f64 v[92:93], v[150:151], 2.0, -v[54:55]
	v_add_f64 v[96:97], v[12:13], -v[24:25]
	v_add_f64 v[24:25], v[20:21], -v[28:29]
	v_add_f64 v[28:29], v[60:61], -v[10:11]
	v_add_f64 v[150:151], v[32:33], -v[14:15]
	v_add_f64 v[14:15], v[26:27], -v[22:23]
	v_add_f64 v[16:17], v[92:93], -v[18:19]
	v_add_f64 v[154:155], v[96:97], v[24:25]
	v_add_f64 v[156:157], v[112:113], v[28:29]
	v_fma_f64 v[20:21], v[20:21], 2.0, -v[24:25]
	v_add_f64 v[160:161], v[150:151], -v[14:15]
	v_fma_f64 v[14:15], v[26:27], 2.0, -v[14:15]
	v_fma_f64 v[24:25], v[62:63], 2.0, -v[148:149]
	;; [unrolled: 1-line block ×4, first 2 shown]
	v_add_f64 v[158:159], v[148:149], -v[16:17]
	v_fma_f64 v[16:17], v[92:93], 2.0, -v[16:17]
	v_fma_f64 v[0:1], v[154:155], s[14:15], v[156:157]
	v_add_f64 v[20:21], v[24:25], -v[20:21]
	v_fma_f64 v[8:9], v[158:159], s[14:15], v[0:1]
	v_fma_f64 v[0:1], v[158:159], s[14:15], v[160:161]
	;; [unrolled: 1-line block ×3, first 2 shown]
	v_mul_f64 v[0:1], v[8:9], v[34:35]
	v_mul_f64 v[18:19], v[10:11], v[34:35]
	v_fma_f64 v[2:3], v[10:11], v[30:31], -v[0:1]
	v_fma_f64 v[10:11], v[160:161], 2.0, -v[10:11]
	v_fma_f64 v[0:1], v[8:9], v[30:31], v[18:19]
	v_fma_f64 v[8:9], v[156:157], 2.0, -v[8:9]
	v_mul_f64 v[22:23], v[10:11], v[88:89]
	v_mul_f64 v[18:19], v[8:9], v[88:89]
	v_fma_f64 v[8:9], v[8:9], v[94:95], v[22:23]
	v_fma_f64 v[22:23], v[32:33], 2.0, -v[150:151]
	v_add_f64 v[32:33], v[26:27], -v[14:15]
	v_fma_f64 v[10:11], v[10:11], v[94:95], -v[18:19]
	v_fma_f64 v[18:19], v[60:61], 2.0, -v[28:29]
	v_fma_f64 v[28:29], v[12:13], 2.0, -v[96:97]
	;; [unrolled: 1-line block ×4, first 2 shown]
	v_add_f64 v[30:31], v[22:23], -v[18:19]
	v_add_f64 v[34:35], v[28:29], -v[16:17]
	v_add_f64 v[16:17], v[32:33], v[20:21]
	v_fma_f64 v[20:21], v[24:25], 2.0, -v[20:21]
	v_add_f64 v[18:19], v[30:31], -v[34:35]
	v_mul_f64 v[12:13], v[16:17], v[40:41]
	v_mul_f64 v[36:37], v[18:19], v[40:41]
	v_fma_f64 v[14:15], v[18:19], v[38:39], -v[12:13]
	v_fma_f64 v[18:19], v[30:31], 2.0, -v[18:19]
	v_fma_f64 v[30:31], v[22:23], 2.0, -v[30:31]
	;; [unrolled: 1-line block ×4, first 2 shown]
	v_fma_f64 v[12:13], v[16:17], v[38:39], v[36:37]
	v_fma_f64 v[16:17], v[32:33], 2.0, -v[16:17]
	v_mul_f64 v[38:39], v[18:19], v[80:81]
	v_add_f64 v[28:29], v[30:31], -v[20:21]
	v_add_f64 v[24:25], v[26:27], -v[22:23]
	v_mul_f64 v[36:37], v[16:17], v[80:81]
	v_fma_f64 v[16:17], v[16:17], v[86:87], v[38:39]
	v_mul_f64 v[32:33], v[28:29], v[64:65]
	v_mul_f64 v[20:21], v[24:25], v[64:65]
	v_fma_f64 v[64:65], v[106:107], 2.0, -v[132:133]
	v_fma_f64 v[18:19], v[18:19], v[86:87], -v[36:37]
	v_fma_f64 v[22:23], v[28:29], v[102:103], -v[20:21]
	v_fma_f64 v[20:21], v[24:25], v[102:103], v[32:33]
	v_fma_f64 v[24:25], v[26:27], 2.0, -v[24:25]
	v_fma_f64 v[26:27], v[30:31], 2.0, -v[28:29]
	;; [unrolled: 1-line block ×3, first 2 shown]
	v_mul_f64 v[28:29], v[52:53], v[24:25]
	v_mul_f64 v[30:31], v[52:53], v[26:27]
	v_fma_f64 v[26:27], v[69:70], v[26:27], -v[28:29]
	v_fma_f64 v[28:29], v[96:97], 2.0, -v[154:155]
	v_fma_f64 v[24:25], v[69:70], v[24:25], v[30:31]
	v_fma_f64 v[30:31], v[148:149], 2.0, -v[158:159]
	v_fma_f64 v[36:37], v[28:29], s[20:21], v[32:33]
	v_fma_f64 v[36:37], v[30:31], s[14:15], v[36:37]
	;; [unrolled: 1-line block ×3, first 2 shown]
	v_fma_f64 v[32:33], v[32:33], 2.0, -v[36:37]
	v_fma_f64 v[38:39], v[28:29], s[20:21], v[30:31]
	v_mul_f64 v[28:29], v[36:37], v[56:57]
	v_mul_f64 v[40:41], v[38:39], v[56:57]
	v_fma_f64 v[30:31], v[38:39], v[50:51], -v[28:29]
	v_fma_f64 v[34:35], v[34:35], 2.0, -v[38:39]
	v_fma_f64 v[28:29], v[36:37], v[50:51], v[40:41]
	v_mul_f64 v[36:37], v[32:33], v[72:73]
	v_mul_f64 v[38:39], v[34:35], v[72:73]
	v_fma_f64 v[40:41], v[132:133], 2.0, -v[136:137]
	v_fma_f64 v[50:51], v[138:139], 2.0, -v[140:141]
	v_fma_f64 v[34:35], v[34:35], v[78:79], -v[36:37]
	v_fma_f64 v[36:37], v[120:121], 2.0, -v[126:127]
	v_fma_f64 v[32:33], v[32:33], v[78:79], v[38:39]
	v_fma_f64 v[38:39], v[142:143], 2.0, -v[144:145]
	v_fma_f64 v[52:53], v[36:37], s[10:11], v[40:41]
	v_fma_f64 v[52:53], v[38:39], s[16:17], v[52:53]
	;; [unrolled: 1-line block ×3, first 2 shown]
	v_fma_f64 v[40:41], v[40:41], 2.0, -v[52:53]
	v_fma_f64 v[56:57], v[36:37], s[24:25], v[38:39]
	v_mul_f64 v[36:37], v[52:53], v[48:49]
	v_mul_f64 v[48:49], v[56:57], v[48:49]
	v_fma_f64 v[38:39], v[56:57], v[42:43], -v[36:37]
	v_fma_f64 v[36:37], v[52:53], v[42:43], v[48:49]
	v_fma_f64 v[42:43], v[50:51], 2.0, -v[56:57]
	v_mul_f64 v[48:49], v[40:41], v[76:77]
	v_fma_f64 v[52:53], v[108:109], 2.0, -v[142:143]
	v_fma_f64 v[56:57], v[116:117], 2.0, -v[134:135]
	v_mul_f64 v[50:51], v[42:43], v[76:77]
	v_fma_f64 v[42:43], v[42:43], v[82:83], -v[48:49]
	v_fma_f64 v[48:49], v[114:115], 2.0, -v[122:123]
	v_fma_f64 v[40:41], v[40:41], v[82:83], v[50:51]
	v_fma_f64 v[50:51], v[54:55], 2.0, -v[118:119]
	v_fma_f64 v[69:70], v[48:49], s[20:21], v[52:53]
	;; [unrolled: 2-line block ×3, first 2 shown]
	v_fma_f64 v[50:51], v[50:51], s[20:21], v[62:63]
	v_fma_f64 v[52:53], v[52:53], 2.0, -v[69:70]
	v_fma_f64 v[71:72], v[48:49], s[14:15], v[50:51]
	v_fma_f64 v[48:49], v[60:61], s[20:21], v[64:65]
	;; [unrolled: 1-line block ×9, first 2 shown]
	v_mul_f64 v[60:61], v[48:49], v[46:47]
	v_mul_f64 v[78:79], v[50:51], v[46:47]
	v_fma_f64 v[46:47], v[50:51], v[44:45], -v[60:61]
	v_fma_f64 v[50:51], v[56:57], 2.0, -v[50:51]
	v_fma_f64 v[56:57], v[54:55], 2.0, -v[56:57]
	v_fma_f64 v[44:45], v[48:49], v[44:45], v[78:79]
	ds_write_b128 v66, v[12:15] offset:2496
	ds_write_b128 v66, v[0:3] offset:2912
	;; [unrolled: 1-line block ×9, first 2 shown]
	buffer_load_dword v0, off, s[60:63], 0 offset:12 ; 4-byte Folded Reload
	v_fma_f64 v[48:49], v[76:77], 2.0, -v[48:49]
	v_mul_f64 v[78:79], v[50:51], v[84:85]
	v_mul_f64 v[60:61], v[48:49], v[84:85]
	v_fma_f64 v[48:49], v[48:49], v[90:91], v[78:79]
	v_fma_f64 v[50:51], v[50:51], v[90:91], -v[60:61]
	v_fma_f64 v[60:61], v[62:63], 2.0, -v[71:72]
	v_fma_f64 v[62:63], v[64:65], 2.0, -v[76:77]
	v_fma_f64 v[54:55], v[60:61], s[24:25], v[62:63]
	v_fma_f64 v[64:65], v[52:53], s[12:13], v[54:55]
	;; [unrolled: 1-line block ×3, first 2 shown]
	v_fma_f64 v[62:63], v[62:63], 2.0, -v[64:65]
	v_fma_f64 v[60:61], v[60:61], s[10:11], v[52:53]
	v_mul_f64 v[52:53], v[64:65], v[100:101]
	v_mul_f64 v[69:70], v[60:61], v[100:101]
	v_fma_f64 v[56:57], v[56:57], 2.0, -v[60:61]
	v_fma_f64 v[54:55], v[60:61], v[58:59], -v[52:53]
	v_fma_f64 v[52:53], v[64:65], v[58:59], v[69:70]
	v_mul_f64 v[58:59], v[62:63], v[67:68]
	v_mul_f64 v[60:61], v[56:57], v[67:68]
	;; [unrolled: 1-line block ×3, first 2 shown]
	v_fma_f64 v[58:59], v[56:57], v[74:75], -v[58:59]
	v_fma_f64 v[56:57], v[62:63], v[74:75], v[60:61]
	v_mul_f64 v[60:61], v[146:147], v[124:125]
	v_fma_f64 v[62:63], v[152:153], v[128:129], -v[60:61]
	v_fma_f64 v[60:61], v[146:147], v[128:129], v[64:65]
	s_waitcnt vmcnt(0)
	ds_write_b128 v0, v[24:27]
	ds_write_b128 v66, v[32:35] offset:416
	ds_write_b128 v66, v[40:43] offset:624
	;; [unrolled: 1-line block ×6, first 2 shown]
.LBB0_21:
	s_or_b32 exec_lo, exec_lo, s22
	s_waitcnt lgkmcnt(0)
	s_waitcnt_vscnt null, 0x0
	s_barrier
	buffer_gl0_inv
	s_and_saveexec_b32 s10, s9
	s_cbranch_execz .LBB0_23
; %bb.22:
	s_clause 0x6
	buffer_load_dword v2, off, s[60:63], 0 offset:4
	buffer_load_dword v10, off, s[60:63], 0 offset:76
	buffer_load_dword v1, off, s[60:63], 0
	buffer_load_dword v3, off, s[60:63], 0 offset:8
	buffer_load_dword v15, off, s[60:63], 0 offset:68
	;; [unrolled: 1-line block ×4, first 2 shown]
	s_waitcnt vmcnt(6)
	v_mad_u64_u32 v[4:5], null, s2, v2, 0
	s_waitcnt vmcnt(5)
	v_mad_u64_u32 v[6:7], null, s0, v10, 0
	s_waitcnt vmcnt(3)
	v_add3_u32 v30, 0, v3, v1
	v_add_nc_u32_e32 v14, 16, v10
	s_mul_i32 s2, s7, s8
	s_mul_hi_u32 s7, s6, s8
	v_mov_b32_e32 v0, v5
	s_mul_i32 s6, s6, s8
	v_mov_b32_e32 v1, v7
	s_add_i32 s7, s7, s2
	v_mad_u64_u32 v[8:9], null, s0, v14, 0
	s_waitcnt vmcnt(1)
	v_mad_u64_u32 v[12:13], null, s0, v17, 0
	v_mad_u64_u32 v[2:3], null, s3, v2, v[0:1]
	s_lshl_b64 s[2:3], s[6:7], 4
	s_add_u32 s6, s18, s2
	s_addc_u32 s7, s19, s3
	s_lshl_b64 s[2:3], s[4:5], 4
	v_mad_u64_u32 v[10:11], null, s1, v10, v[1:2]
	v_mov_b32_e32 v5, v2
	ds_read_b128 v[0:3], v30
	s_add_u32 s2, s6, s2
	s_addc_u32 s3, s7, s3
	v_lshlrev_b64 v[4:5], 4, v[4:5]
	v_mov_b32_e32 v7, v10
	v_mad_u64_u32 v[10:11], null, s0, v15, 0
	v_add_co_u32 v31, vcc_lo, s2, v4
	v_add_co_ci_u32_e32 v32, vcc_lo, s3, v5, vcc_lo
	v_lshlrev_b64 v[4:5], 4, v[6:7]
	v_mad_u64_u32 v[6:7], null, s1, v14, v[9:10]
	v_mov_b32_e32 v7, v11
	v_mov_b32_e32 v9, v13
	v_add_co_u32 v13, vcc_lo, v31, v4
	v_mad_u64_u32 v[15:16], null, s1, v15, v[7:8]
	v_add_co_ci_u32_e32 v14, vcc_lo, v32, v5, vcc_lo
	v_mad_u64_u32 v[16:17], null, s1, v17, v[9:10]
	v_mov_b32_e32 v9, v6
	ds_read_b128 v[4:7], v30 offset:256
	s_waitcnt lgkmcnt(1)
	global_store_dwordx4 v[13:14], v[0:3], off
	v_mov_b32_e32 v11, v15
	s_waitcnt vmcnt(0)
	v_mad_u64_u32 v[14:15], null, s0, v22, 0
	v_lshlrev_b64 v[0:1], 4, v[8:9]
	v_mov_b32_e32 v13, v16
	v_lshlrev_b64 v[18:19], 4, v[10:11]
	v_add_co_u32 v16, vcc_lo, v31, v0
	v_add_co_ci_u32_e32 v17, vcc_lo, v32, v1, vcc_lo
	ds_read_b128 v[0:3], v30 offset:512
	ds_read_b128 v[8:11], v30 offset:768
	s_clause 0x1
	buffer_load_dword v26, off, s[60:63], 0 offset:60
	buffer_load_dword v25, off, s[60:63], 0 offset:56
	v_lshlrev_b64 v[12:13], 4, v[12:13]
	v_add_co_u32 v18, vcc_lo, v31, v18
	v_add_co_ci_u32_e32 v19, vcc_lo, v32, v19, vcc_lo
	v_mad_u64_u32 v[22:23], null, s1, v22, v[15:16]
	v_add_co_u32 v12, vcc_lo, v31, v12
	v_add_co_ci_u32_e32 v13, vcc_lo, v32, v13, vcc_lo
	s_waitcnt lgkmcnt(2)
	global_store_dwordx4 v[16:17], v[4:7], off
	s_waitcnt lgkmcnt(1)
	global_store_dwordx4 v[18:19], v[0:3], off
	;; [unrolled: 2-line block ×3, first 2 shown]
	buffer_load_dword v12, off, s[60:63], 0 offset:52 ; 4-byte Folded Reload
	v_mov_b32_e32 v15, v22
	v_lshlrev_b64 v[0:1], 4, v[14:15]
	v_add_co_u32 v18, vcc_lo, v31, v0
	v_add_co_ci_u32_e32 v19, vcc_lo, v32, v1, vcc_lo
	s_waitcnt vmcnt(2)
	v_mad_u64_u32 v[20:21], null, s0, v26, 0
	s_waitcnt vmcnt(1)
	v_mad_u64_u32 v[23:24], null, s0, v25, 0
	v_mad_u64_u32 v[21:22], null, s1, v26, v[21:22]
	v_mov_b32_e32 v2, v24
	v_mad_u64_u32 v[8:9], null, s1, v25, v[2:3]
	ds_read_b128 v[0:3], v30 offset:1024
	ds_read_b128 v[4:7], v30 offset:1280
	buffer_load_dword v27, off, s[60:63], 0 offset:48 ; 4-byte Folded Reload
	v_lshlrev_b64 v[10:11], 4, v[20:21]
	s_waitcnt vmcnt(1)
	v_mad_u64_u32 v[16:17], null, s0, v12, 0
	v_mov_b32_e32 v24, v8
	v_add_co_u32 v25, vcc_lo, v31, v10
	v_add_co_ci_u32_e32 v26, vcc_lo, v32, v11, vcc_lo
	v_mov_b32_e32 v9, v17
	v_lshlrev_b64 v[23:24], 4, v[23:24]
	v_mad_u64_u32 v[20:21], null, s1, v12, v[9:10]
	ds_read_b128 v[8:11], v30 offset:1536
	ds_read_b128 v[12:15], v30 offset:1792
	v_add_co_u32 v23, vcc_lo, v31, v23
	v_add_co_ci_u32_e32 v24, vcc_lo, v32, v24, vcc_lo
	s_waitcnt lgkmcnt(3)
	global_store_dwordx4 v[18:19], v[0:3], off
	v_mov_b32_e32 v17, v20
	v_lshlrev_b64 v[16:17], 4, v[16:17]
	v_add_co_u32 v16, vcc_lo, v31, v16
	v_add_co_ci_u32_e32 v17, vcc_lo, v32, v17, vcc_lo
	s_waitcnt vmcnt(0)
	v_mad_u64_u32 v[21:22], null, s0, v27, 0
	v_mov_b32_e32 v20, v22
	v_mad_u64_u32 v[27:28], null, s1, v27, v[20:21]
	buffer_load_dword v20, off, s[60:63], 0 offset:44 ; 4-byte Folded Reload
	s_waitcnt lgkmcnt(2)
	global_store_dwordx4 v[25:26], v[4:7], off
	s_waitcnt lgkmcnt(1)
	global_store_dwordx4 v[23:24], v[8:11], off
	;; [unrolled: 2-line block ×3, first 2 shown]
	s_clause 0x2
	buffer_load_dword v5, off, s[60:63], 0 offset:40
	buffer_load_dword v14, off, s[60:63], 0 offset:36
	;; [unrolled: 1-line block ×3, first 2 shown]
	v_mov_b32_e32 v22, v27
	v_lshlrev_b64 v[1:2], 4, v[21:22]
	v_add_co_u32 v22, vcc_lo, v31, v1
	v_add_co_ci_u32_e32 v23, vcc_lo, v32, v2, vcc_lo
	s_waitcnt vmcnt(3)
	v_mad_u64_u32 v[28:29], null, s0, v20, 0
	s_waitcnt vmcnt(2)
	v_mad_u64_u32 v[8:9], null, s0, v5, 0
	;; [unrolled: 2-line block ×3, first 2 shown]
	v_mov_b32_e32 v0, v29
	v_mov_b32_e32 v13, v25
	v_mad_u64_u32 v[3:4], null, s1, v20, v[0:1]
	v_mad_u64_u32 v[20:21], null, s0, v14, 0
	v_mov_b32_e32 v0, v9
	v_mov_b32_e32 v29, v3
	v_mad_u64_u32 v[9:10], null, s1, v5, v[0:1]
	v_mov_b32_e32 v10, v21
	ds_read_b128 v[0:3], v30 offset:2048
	ds_read_b128 v[4:7], v30 offset:2304
	v_lshlrev_b64 v[11:12], 4, v[28:29]
	v_lshlrev_b64 v[28:29], 4, v[8:9]
	v_mad_u64_u32 v[14:15], null, s1, v14, v[10:11]
	v_mad_u64_u32 v[25:26], null, s1, v16, v[13:14]
	v_add_co_u32 v26, vcc_lo, v31, v11
	v_add_co_ci_u32_e32 v27, vcc_lo, v32, v12, vcc_lo
	v_mov_b32_e32 v21, v14
	ds_read_b128 v[8:11], v30 offset:2560
	ds_read_b128 v[12:15], v30 offset:2816
	;; [unrolled: 1-line block ×3, first 2 shown]
	v_add_co_u32 v28, vcc_lo, v31, v28
	v_lshlrev_b64 v[24:25], 4, v[24:25]
	v_lshlrev_b64 v[20:21], 4, v[20:21]
	v_add_co_ci_u32_e32 v29, vcc_lo, v32, v29, vcc_lo
	v_add_co_u32 v20, vcc_lo, v31, v20
	v_add_co_ci_u32_e32 v21, vcc_lo, v32, v21, vcc_lo
	v_add_co_u32 v24, vcc_lo, v31, v24
	v_add_co_ci_u32_e32 v25, vcc_lo, v32, v25, vcc_lo
	s_waitcnt lgkmcnt(4)
	global_store_dwordx4 v[22:23], v[0:3], off
	s_waitcnt lgkmcnt(3)
	global_store_dwordx4 v[26:27], v[4:7], off
	;; [unrolled: 2-line block ×5, first 2 shown]
.LBB0_23:
	s_endpgm
	.section	.rodata,"a",@progbits
	.p2align	6, 0x0
	.amdhsa_kernel fft_rtc_back_len208_factors_13_16_wgs_144_tpt_16_dp_op_CI_CI_sbcc_twdbase6_3step
		.amdhsa_group_segment_fixed_size 0
		.amdhsa_private_segment_fixed_size 92
		.amdhsa_kernarg_size 112
		.amdhsa_user_sgpr_count 6
		.amdhsa_user_sgpr_private_segment_buffer 1
		.amdhsa_user_sgpr_dispatch_ptr 0
		.amdhsa_user_sgpr_queue_ptr 0
		.amdhsa_user_sgpr_kernarg_segment_ptr 1
		.amdhsa_user_sgpr_dispatch_id 0
		.amdhsa_user_sgpr_flat_scratch_init 0
		.amdhsa_user_sgpr_private_segment_size 0
		.amdhsa_wavefront_size32 1
		.amdhsa_uses_dynamic_stack 0
		.amdhsa_system_sgpr_private_segment_wavefront_offset 1
		.amdhsa_system_sgpr_workgroup_id_x 1
		.amdhsa_system_sgpr_workgroup_id_y 0
		.amdhsa_system_sgpr_workgroup_id_z 0
		.amdhsa_system_sgpr_workgroup_info 0
		.amdhsa_system_vgpr_workitem_id 0
		.amdhsa_next_free_vgpr 256
		.amdhsa_next_free_sgpr 64
		.amdhsa_reserve_vcc 1
		.amdhsa_reserve_flat_scratch 0
		.amdhsa_float_round_mode_32 0
		.amdhsa_float_round_mode_16_64 0
		.amdhsa_float_denorm_mode_32 3
		.amdhsa_float_denorm_mode_16_64 3
		.amdhsa_dx10_clamp 1
		.amdhsa_ieee_mode 1
		.amdhsa_fp16_overflow 0
		.amdhsa_workgroup_processor_mode 1
		.amdhsa_memory_ordered 1
		.amdhsa_forward_progress 0
		.amdhsa_shared_vgpr_count 0
		.amdhsa_exception_fp_ieee_invalid_op 0
		.amdhsa_exception_fp_denorm_src 0
		.amdhsa_exception_fp_ieee_div_zero 0
		.amdhsa_exception_fp_ieee_overflow 0
		.amdhsa_exception_fp_ieee_underflow 0
		.amdhsa_exception_fp_ieee_inexact 0
		.amdhsa_exception_int_div_zero 0
	.end_amdhsa_kernel
	.text
.Lfunc_end0:
	.size	fft_rtc_back_len208_factors_13_16_wgs_144_tpt_16_dp_op_CI_CI_sbcc_twdbase6_3step, .Lfunc_end0-fft_rtc_back_len208_factors_13_16_wgs_144_tpt_16_dp_op_CI_CI_sbcc_twdbase6_3step
                                        ; -- End function
	.section	.AMDGPU.csdata,"",@progbits
; Kernel info:
; codeLenInByte = 13448
; NumSgprs: 66
; NumVgprs: 256
; ScratchSize: 92
; MemoryBound: 0
; FloatMode: 240
; IeeeMode: 1
; LDSByteSize: 0 bytes/workgroup (compile time only)
; SGPRBlocks: 8
; VGPRBlocks: 31
; NumSGPRsForWavesPerEU: 66
; NumVGPRsForWavesPerEU: 256
; Occupancy: 4
; WaveLimiterHint : 1
; COMPUTE_PGM_RSRC2:SCRATCH_EN: 1
; COMPUTE_PGM_RSRC2:USER_SGPR: 6
; COMPUTE_PGM_RSRC2:TRAP_HANDLER: 0
; COMPUTE_PGM_RSRC2:TGID_X_EN: 1
; COMPUTE_PGM_RSRC2:TGID_Y_EN: 0
; COMPUTE_PGM_RSRC2:TGID_Z_EN: 0
; COMPUTE_PGM_RSRC2:TIDIG_COMP_CNT: 0
	.text
	.p2alignl 6, 3214868480
	.fill 48, 4, 3214868480
	.type	__hip_cuid_14a9bb6ae752437c,@object ; @__hip_cuid_14a9bb6ae752437c
	.section	.bss,"aw",@nobits
	.globl	__hip_cuid_14a9bb6ae752437c
__hip_cuid_14a9bb6ae752437c:
	.byte	0                               ; 0x0
	.size	__hip_cuid_14a9bb6ae752437c, 1

	.ident	"AMD clang version 19.0.0git (https://github.com/RadeonOpenCompute/llvm-project roc-6.4.0 25133 c7fe45cf4b819c5991fe208aaa96edf142730f1d)"
	.section	".note.GNU-stack","",@progbits
	.addrsig
	.addrsig_sym __hip_cuid_14a9bb6ae752437c
	.amdgpu_metadata
---
amdhsa.kernels:
  - .args:
      - .actual_access:  read_only
        .address_space:  global
        .offset:         0
        .size:           8
        .value_kind:     global_buffer
      - .address_space:  global
        .offset:         8
        .size:           8
        .value_kind:     global_buffer
      - .offset:         16
        .size:           8
        .value_kind:     by_value
      - .actual_access:  read_only
        .address_space:  global
        .offset:         24
        .size:           8
        .value_kind:     global_buffer
      - .actual_access:  read_only
        .address_space:  global
        .offset:         32
        .size:           8
        .value_kind:     global_buffer
      - .actual_access:  read_only
        .address_space:  global
        .offset:         40
        .size:           8
        .value_kind:     global_buffer
      - .offset:         48
        .size:           8
        .value_kind:     by_value
      - .actual_access:  read_only
        .address_space:  global
        .offset:         56
        .size:           8
        .value_kind:     global_buffer
      - .actual_access:  read_only
        .address_space:  global
        .offset:         64
        .size:           8
        .value_kind:     global_buffer
      - .offset:         72
        .size:           4
        .value_kind:     by_value
      - .actual_access:  read_only
        .address_space:  global
        .offset:         80
        .size:           8
        .value_kind:     global_buffer
      - .actual_access:  read_only
        .address_space:  global
        .offset:         88
        .size:           8
        .value_kind:     global_buffer
      - .actual_access:  read_only
        .address_space:  global
        .offset:         96
        .size:           8
        .value_kind:     global_buffer
      - .actual_access:  write_only
        .address_space:  global
        .offset:         104
        .size:           8
        .value_kind:     global_buffer
    .group_segment_fixed_size: 0
    .kernarg_segment_align: 8
    .kernarg_segment_size: 112
    .language:       OpenCL C
    .language_version:
      - 2
      - 0
    .max_flat_workgroup_size: 144
    .name:           fft_rtc_back_len208_factors_13_16_wgs_144_tpt_16_dp_op_CI_CI_sbcc_twdbase6_3step
    .private_segment_fixed_size: 92
    .sgpr_count:     66
    .sgpr_spill_count: 0
    .symbol:         fft_rtc_back_len208_factors_13_16_wgs_144_tpt_16_dp_op_CI_CI_sbcc_twdbase6_3step.kd
    .uniform_work_group_size: 1
    .uses_dynamic_stack: false
    .vgpr_count:     256
    .vgpr_spill_count: 26
    .wavefront_size: 32
    .workgroup_processor_mode: 1
amdhsa.target:   amdgcn-amd-amdhsa--gfx1030
amdhsa.version:
  - 1
  - 2
...

	.end_amdgpu_metadata
